;; amdgpu-corpus repo=ROCm/rocFFT kind=compiled arch=gfx1201 opt=O3
	.text
	.amdgcn_target "amdgcn-amd-amdhsa--gfx1201"
	.amdhsa_code_object_version 6
	.protected	fft_rtc_fwd_len160_factors_2_4_4_5_wgs_200_tpt_10_halfLds_dim2_sp_ip_CI_sbcc_twdbase8_3step_dirReg_intrinsicReadWrite ; -- Begin function fft_rtc_fwd_len160_factors_2_4_4_5_wgs_200_tpt_10_halfLds_dim2_sp_ip_CI_sbcc_twdbase8_3step_dirReg_intrinsicReadWrite
	.globl	fft_rtc_fwd_len160_factors_2_4_4_5_wgs_200_tpt_10_halfLds_dim2_sp_ip_CI_sbcc_twdbase8_3step_dirReg_intrinsicReadWrite
	.p2align	8
	.type	fft_rtc_fwd_len160_factors_2_4_4_5_wgs_200_tpt_10_halfLds_dim2_sp_ip_CI_sbcc_twdbase8_3step_dirReg_intrinsicReadWrite,@function
fft_rtc_fwd_len160_factors_2_4_4_5_wgs_200_tpt_10_halfLds_dim2_sp_ip_CI_sbcc_twdbase8_3step_dirReg_intrinsicReadWrite: ; @fft_rtc_fwd_len160_factors_2_4_4_5_wgs_200_tpt_10_halfLds_dim2_sp_ip_CI_sbcc_twdbase8_3step_dirReg_intrinsicReadWrite
; %bb.0:
	s_load_b128 s[4:7], s[0:1], 0x10
	s_mov_b32 s3, 0
	s_mov_b32 s8, 0xcccc3000
	;; [unrolled: 1-line block ×4, first 2 shown]
	s_movk_i32 s10, 0xffec
	s_add_nc_u64 s[8:9], s[2:3], s[8:9]
	s_mov_b32 s11, -1
	s_add_co_i32 s9, s9, 0xccccca0
	s_delay_alu instid0(SALU_CYCLE_1) | instskip(NEXT) | instid1(SALU_CYCLE_1)
	s_mul_u64 s[12:13], s[8:9], s[10:11]
	s_mul_hi_u32 s2, s8, s12
	s_mul_i32 s15, s9, s12
	s_mul_hi_u32 s14, s9, s12
	s_mul_hi_u32 s16, s9, s13
	s_mul_i32 s12, s9, s13
	s_wait_kmcnt 0x0
	s_load_b64 s[10:11], s[4:5], 0x8
	s_mul_hi_u32 s5, s8, s13
	s_mul_i32 s4, s8, s13
	s_delay_alu instid0(SALU_CYCLE_1) | instskip(NEXT) | instid1(SALU_CYCLE_1)
	s_add_nc_u64 s[4:5], s[2:3], s[4:5]
	s_add_co_u32 s2, s4, s15
	s_add_co_ci_u32 s2, s5, s14
	s_add_co_ci_u32 s13, s16, 0
	s_delay_alu instid0(SALU_CYCLE_1) | instskip(NEXT) | instid1(SALU_CYCLE_1)
	s_add_nc_u64 s[4:5], s[2:3], s[12:13]
	v_add_co_u32 v1, s2, s8, s4
	s_delay_alu instid0(VALU_DEP_1) | instskip(SKIP_1) | instid1(VALU_DEP_1)
	s_cmp_lg_u32 s2, 0
	s_add_co_ci_u32 s12, s9, s5
	v_readfirstlane_b32 s13, v1
	s_wait_kmcnt 0x0
	s_add_nc_u64 s[4:5], s[10:11], -1
	s_wait_alu 0xfffe
	s_mul_hi_u32 s9, s4, s12
	s_mul_i32 s8, s4, s12
	s_mul_hi_u32 s2, s4, s13
	s_mul_hi_u32 s15, s5, s13
	s_mul_i32 s13, s5, s13
	s_wait_alu 0xfffe
	s_add_nc_u64 s[8:9], s[2:3], s[8:9]
	s_mul_hi_u32 s14, s5, s12
	s_wait_alu 0xfffe
	s_add_co_u32 s2, s8, s13
	s_add_co_ci_u32 s2, s9, s15
	s_mul_i32 s12, s5, s12
	s_add_co_ci_u32 s13, s14, 0
	s_delay_alu instid0(SALU_CYCLE_1) | instskip(NEXT) | instid1(SALU_CYCLE_1)
	s_add_nc_u64 s[12:13], s[2:3], s[12:13]
	s_mul_u64 s[8:9], s[12:13], 20
	s_wait_alu 0xfffe
	v_sub_co_u32 v1, s2, s4, s8
	s_delay_alu instid0(VALU_DEP_1) | instskip(SKIP_1) | instid1(VALU_DEP_1)
	s_cmp_lg_u32 s2, 0
	s_sub_co_ci_u32 s14, s5, s9
	v_sub_co_u32 v2, s4, v1, 20
	s_delay_alu instid0(VALU_DEP_1) | instskip(SKIP_2) | instid1(VALU_DEP_2)
	s_cmp_lg_u32 s4, 0
	v_readfirstlane_b32 s15, v1
	s_sub_co_ci_u32 s8, s14, 0
	v_readfirstlane_b32 s2, v2
	s_add_nc_u64 s[4:5], s[12:13], 1
	s_delay_alu instid0(VALU_DEP_1)
	s_cmp_gt_u32 s2, 19
	s_cselect_b32 s2, -1, 0
	s_wait_alu 0xfffe
	s_cmp_eq_u32 s8, 0
	s_add_nc_u64 s[8:9], s[12:13], 2
	s_cselect_b32 s2, s2, -1
	s_delay_alu instid0(SALU_CYCLE_1)
	s_cmp_lg_u32 s2, 0
	s_wait_alu 0xfffe
	s_cselect_b32 s2, s8, s4
	s_cselect_b32 s16, s9, s5
	s_cmp_gt_u32 s15, 19
	s_load_b64 s[4:5], s[0:1], 0x50
	s_cselect_b32 s8, -1, 0
	s_cmp_eq_u32 s14, 0
	s_wait_alu 0xfffe
	s_cselect_b32 s14, s8, -1
	s_load_b64 s[8:9], s[6:7], 0x0
	s_cmp_lg_u32 s14, 0
	s_mov_b64 s[14:15], 0
	s_cselect_b32 s13, s16, s13
	s_cselect_b32 s12, s2, s12
	s_mov_b32 s2, ttmp9
	s_add_nc_u64 s[12:13], s[12:13], 1
	s_wait_kmcnt 0x0
	v_cmp_lt_u64_e64 s9, s[2:3], s[12:13]
	s_delay_alu instid0(VALU_DEP_1)
	s_and_b32 vcc_lo, exec_lo, s9
	s_cbranch_vccnz .LBB0_2
; %bb.1:
	v_cvt_f32_u32_e32 v1, s12
	s_sub_co_i32 s14, 0, s12
	s_delay_alu instid0(VALU_DEP_1) | instskip(NEXT) | instid1(TRANS32_DEP_1)
	v_rcp_iflag_f32_e32 v1, v1
	v_mul_f32_e32 v1, 0x4f7ffffe, v1
	s_delay_alu instid0(VALU_DEP_1) | instskip(NEXT) | instid1(VALU_DEP_1)
	v_cvt_u32_f32_e32 v1, v1
	v_readfirstlane_b32 s9, v1
	s_delay_alu instid0(VALU_DEP_1) | instskip(NEXT) | instid1(SALU_CYCLE_1)
	s_mul_i32 s14, s14, s9
	s_mul_hi_u32 s14, s9, s14
	s_delay_alu instid0(SALU_CYCLE_1)
	s_add_co_i32 s9, s9, s14
	s_wait_alu 0xfffe
	s_mul_hi_u32 s9, s2, s9
	s_wait_alu 0xfffe
	s_mul_i32 s14, s9, s12
	s_add_co_i32 s15, s9, 1
	s_sub_co_i32 s14, s2, s14
	s_delay_alu instid0(SALU_CYCLE_1)
	s_sub_co_i32 s16, s14, s12
	s_cmp_ge_u32 s14, s12
	s_cselect_b32 s9, s15, s9
	s_cselect_b32 s14, s16, s14
	s_wait_alu 0xfffe
	s_add_co_i32 s15, s9, 1
	s_cmp_ge_u32 s14, s12
	s_cselect_b32 s14, s15, s9
	s_mov_b32 s15, s3
.LBB0_2:
	v_mul_u32_u24_e32 v1, 0xccd, v0
	s_load_b128 s[16:19], s[6:7], 0x8
	s_mul_u64 s[6:7], s[14:15], s[12:13]
	v_mov_b32_e32 v4, 0
	s_sub_nc_u64 s[2:3], s[2:3], s[6:7]
	v_lshrrev_b32_e32 v162, 16, v1
	s_wait_alu 0xfffe
	s_mul_u64 s[6:7], s[2:3], 20
	s_delay_alu instid0(SALU_CYCLE_1) | instskip(SKIP_3) | instid1(VALU_DEP_1)
	s_add_nc_u64 s[2:3], s[6:7], 20
	s_wait_alu 0xfffe
	v_cmp_le_u64_e64 s3, s[2:3], s[10:11]
	v_mul_lo_u16 v1, v162, 20
	v_sub_nc_u16 v1, v0, v1
	s_delay_alu instid0(VALU_DEP_1) | instskip(SKIP_2) | instid1(VALU_DEP_1)
	v_and_b32_e32 v36, 0xffff, v1
	s_wait_kmcnt 0x0
	s_mul_u64 s[12:13], s[18:19], s[14:15]
	v_mad_co_u64_u32 v[33:34], null, s16, v36, 0
	s_delay_alu instid0(VALU_DEP_1) | instskip(SKIP_3) | instid1(VALU_DEP_3)
	v_mov_b32_e32 v1, v34
	v_add_co_u32 v34, s2, s6, v36
	s_wait_alu 0xf1ff
	v_add_co_ci_u32_e64 v35, null, s7, 0, s2
	v_mad_co_u64_u32 v[1:2], null, s17, v36, v[1:2]
	s_mul_u64 s[6:7], s[6:7], s[16:17]
	s_delay_alu instid0(VALU_DEP_2)
	v_cmp_gt_u64_e32 vcc_lo, s[10:11], v[34:35]
	v_dual_mov_b32 v2, 0 :: v_dual_mov_b32 v1, 0
	s_wait_alu 0xfffe
	s_add_nc_u64 s[6:7], s[12:13], s[6:7]
	s_or_b32 s7, s3, vcc_lo
	s_wait_alu 0xfffe
	s_and_saveexec_b32 s9, s7
	s_cbranch_execz .LBB0_4
; %bb.3:
	v_mul_lo_u32 v1, s8, v162
	v_mov_b32_e32 v2, 0
	s_delay_alu instid0(VALU_DEP_2) | instskip(NEXT) | instid1(VALU_DEP_1)
	v_add3_u32 v1, s6, v33, v1
	v_lshlrev_b64_e32 v[1:2], 3, v[1:2]
	s_delay_alu instid0(VALU_DEP_1) | instskip(SKIP_1) | instid1(VALU_DEP_2)
	v_add_co_u32 v1, s2, s4, v1
	s_wait_alu 0xf1ff
	v_add_co_ci_u32_e64 v2, s2, s5, v2, s2
	global_load_b64 v[1:2], v[1:2], off
.LBB0_4:
	s_wait_alu 0xfffe
	s_or_b32 exec_lo, exec_lo, s9
	v_mov_b32_e32 v3, 0
	s_and_saveexec_b32 s9, s7
	s_cbranch_execz .LBB0_6
; %bb.5:
	v_or_b32_e32 v3, 0x50, v162
	v_mov_b32_e32 v4, 0
	s_delay_alu instid0(VALU_DEP_2) | instskip(NEXT) | instid1(VALU_DEP_1)
	v_mul_lo_u32 v3, s8, v3
	v_add3_u32 v3, s6, v33, v3
	s_delay_alu instid0(VALU_DEP_1) | instskip(NEXT) | instid1(VALU_DEP_1)
	v_lshlrev_b64_e32 v[3:4], 3, v[3:4]
	v_add_co_u32 v3, s2, s4, v3
	s_wait_alu 0xf1ff
	s_delay_alu instid0(VALU_DEP_2)
	v_add_co_ci_u32_e64 v4, s2, s5, v4, s2
	global_load_b64 v[3:4], v[3:4], off
.LBB0_6:
	s_wait_alu 0xfffe
	s_or_b32 exec_lo, exec_lo, s9
	v_dual_mov_b32 v8, 0 :: v_dual_add_nc_u32 v161, 10, v162
	v_dual_mov_b32 v6, 0 :: v_dual_mov_b32 v5, 0
	s_and_saveexec_b32 s9, s7
	s_cbranch_execz .LBB0_8
; %bb.7:
	s_delay_alu instid0(VALU_DEP_2) | instskip(SKIP_1) | instid1(VALU_DEP_2)
	v_mul_lo_u32 v5, s8, v161
	v_mov_b32_e32 v6, 0
	v_add3_u32 v5, s6, v33, v5
	s_delay_alu instid0(VALU_DEP_1) | instskip(NEXT) | instid1(VALU_DEP_1)
	v_lshlrev_b64_e32 v[5:6], 3, v[5:6]
	v_add_co_u32 v5, s2, s4, v5
	s_wait_alu 0xf1ff
	s_delay_alu instid0(VALU_DEP_2)
	v_add_co_ci_u32_e64 v6, s2, s5, v6, s2
	global_load_b64 v[5:6], v[5:6], off
.LBB0_8:
	s_wait_alu 0xfffe
	s_or_b32 exec_lo, exec_lo, s9
	v_mov_b32_e32 v7, 0
	s_and_saveexec_b32 s9, s7
	s_cbranch_execz .LBB0_10
; %bb.9:
	v_dual_mov_b32 v8, 0 :: v_dual_add_nc_u32 v7, 0x5a, v162
	s_delay_alu instid0(VALU_DEP_1) | instskip(NEXT) | instid1(VALU_DEP_1)
	v_mul_lo_u32 v7, s8, v7
	v_add3_u32 v7, s6, v33, v7
	s_delay_alu instid0(VALU_DEP_1) | instskip(NEXT) | instid1(VALU_DEP_1)
	v_lshlrev_b64_e32 v[7:8], 3, v[7:8]
	v_add_co_u32 v7, s2, s4, v7
	s_wait_alu 0xf1ff
	s_delay_alu instid0(VALU_DEP_2)
	v_add_co_ci_u32_e64 v8, s2, s5, v8, s2
	global_load_b64 v[7:8], v[7:8], off
.LBB0_10:
	s_wait_alu 0xfffe
	s_or_b32 exec_lo, exec_lo, s9
	v_dual_mov_b32 v9, 0 :: v_dual_add_nc_u32 v160, 20, v162
	v_mov_b32_e32 v12, 0
	v_mov_b32_e32 v10, 0
	s_and_saveexec_b32 s9, s7
	s_cbranch_execz .LBB0_12
; %bb.11:
	v_mul_lo_u32 v9, s8, v160
	v_mov_b32_e32 v10, 0
	s_delay_alu instid0(VALU_DEP_2) | instskip(NEXT) | instid1(VALU_DEP_1)
	v_add3_u32 v9, s6, v33, v9
	v_lshlrev_b64_e32 v[9:10], 3, v[9:10]
	s_delay_alu instid0(VALU_DEP_1) | instskip(SKIP_1) | instid1(VALU_DEP_2)
	v_add_co_u32 v9, s2, s4, v9
	s_wait_alu 0xf1ff
	v_add_co_ci_u32_e64 v10, s2, s5, v10, s2
	global_load_b64 v[9:10], v[9:10], off
.LBB0_12:
	s_wait_alu 0xfffe
	s_or_b32 exec_lo, exec_lo, s9
	v_mov_b32_e32 v11, 0
	s_and_saveexec_b32 s9, s7
	s_cbranch_execz .LBB0_14
; %bb.13:
	v_dual_mov_b32 v12, 0 :: v_dual_add_nc_u32 v11, 0x64, v162
	s_delay_alu instid0(VALU_DEP_1) | instskip(NEXT) | instid1(VALU_DEP_1)
	v_mul_lo_u32 v11, s8, v11
	v_add3_u32 v11, s6, v33, v11
	s_delay_alu instid0(VALU_DEP_1) | instskip(NEXT) | instid1(VALU_DEP_1)
	v_lshlrev_b64_e32 v[11:12], 3, v[11:12]
	v_add_co_u32 v11, s2, s4, v11
	s_wait_alu 0xf1ff
	s_delay_alu instid0(VALU_DEP_2)
	v_add_co_ci_u32_e64 v12, s2, s5, v12, s2
	global_load_b64 v[11:12], v[11:12], off
.LBB0_14:
	s_wait_alu 0xfffe
	s_or_b32 exec_lo, exec_lo, s9
	v_dual_mov_b32 v16, 0 :: v_dual_add_nc_u32 v159, 30, v162
	v_dual_mov_b32 v14, 0 :: v_dual_mov_b32 v13, 0
	s_and_saveexec_b32 s9, s7
	s_cbranch_execz .LBB0_16
; %bb.15:
	s_delay_alu instid0(VALU_DEP_2) | instskip(SKIP_1) | instid1(VALU_DEP_2)
	v_mul_lo_u32 v13, s8, v159
	v_mov_b32_e32 v14, 0
	v_add3_u32 v13, s6, v33, v13
	s_delay_alu instid0(VALU_DEP_1) | instskip(NEXT) | instid1(VALU_DEP_1)
	v_lshlrev_b64_e32 v[13:14], 3, v[13:14]
	v_add_co_u32 v13, s2, s4, v13
	s_wait_alu 0xf1ff
	s_delay_alu instid0(VALU_DEP_2)
	v_add_co_ci_u32_e64 v14, s2, s5, v14, s2
	global_load_b64 v[13:14], v[13:14], off
.LBB0_16:
	s_wait_alu 0xfffe
	s_or_b32 exec_lo, exec_lo, s9
	v_mov_b32_e32 v15, 0
	s_and_saveexec_b32 s9, s7
	s_cbranch_execz .LBB0_18
; %bb.17:
	v_dual_mov_b32 v16, 0 :: v_dual_add_nc_u32 v15, 0x6e, v162
	s_delay_alu instid0(VALU_DEP_1) | instskip(NEXT) | instid1(VALU_DEP_1)
	v_mul_lo_u32 v15, s8, v15
	v_add3_u32 v15, s6, v33, v15
	s_delay_alu instid0(VALU_DEP_1) | instskip(NEXT) | instid1(VALU_DEP_1)
	v_lshlrev_b64_e32 v[15:16], 3, v[15:16]
	v_add_co_u32 v15, s2, s4, v15
	s_wait_alu 0xf1ff
	s_delay_alu instid0(VALU_DEP_2)
	v_add_co_ci_u32_e64 v16, s2, s5, v16, s2
	global_load_b64 v[15:16], v[15:16], off
.LBB0_18:
	s_wait_alu 0xfffe
	s_or_b32 exec_lo, exec_lo, s9
	v_dual_mov_b32 v20, 0 :: v_dual_add_nc_u32 v35, 40, v162
	v_dual_mov_b32 v18, 0 :: v_dual_mov_b32 v17, 0
	s_and_saveexec_b32 s9, s7
	s_cbranch_execz .LBB0_20
; %bb.19:
	s_delay_alu instid0(VALU_DEP_2) | instskip(SKIP_1) | instid1(VALU_DEP_2)
	v_mul_lo_u32 v17, s8, v35
	v_mov_b32_e32 v18, 0
	v_add3_u32 v17, s6, v33, v17
	s_delay_alu instid0(VALU_DEP_1) | instskip(NEXT) | instid1(VALU_DEP_1)
	v_lshlrev_b64_e32 v[17:18], 3, v[17:18]
	v_add_co_u32 v17, s2, s4, v17
	s_wait_alu 0xf1ff
	s_delay_alu instid0(VALU_DEP_2)
	v_add_co_ci_u32_e64 v18, s2, s5, v18, s2
	global_load_b64 v[17:18], v[17:18], off
.LBB0_20:
	s_wait_alu 0xfffe
	s_or_b32 exec_lo, exec_lo, s9
	v_mov_b32_e32 v19, 0
	s_and_saveexec_b32 s9, s7
	s_cbranch_execz .LBB0_22
; %bb.21:
	v_dual_mov_b32 v20, 0 :: v_dual_add_nc_u32 v19, 0x78, v162
	s_delay_alu instid0(VALU_DEP_1) | instskip(NEXT) | instid1(VALU_DEP_1)
	v_mul_lo_u32 v19, s8, v19
	v_add3_u32 v19, s6, v33, v19
	s_delay_alu instid0(VALU_DEP_1) | instskip(NEXT) | instid1(VALU_DEP_1)
	v_lshlrev_b64_e32 v[19:20], 3, v[19:20]
	v_add_co_u32 v19, s2, s4, v19
	s_wait_alu 0xf1ff
	s_delay_alu instid0(VALU_DEP_2)
	v_add_co_ci_u32_e64 v20, s2, s5, v20, s2
	global_load_b64 v[19:20], v[19:20], off
.LBB0_22:
	s_wait_alu 0xfffe
	s_or_b32 exec_lo, exec_lo, s9
	v_dual_mov_b32 v24, 0 :: v_dual_mov_b32 v21, 0
	v_mov_b32_e32 v22, 0
	s_and_saveexec_b32 s9, s7
	s_cbranch_execz .LBB0_24
; %bb.23:
	v_dual_mov_b32 v22, 0 :: v_dual_add_nc_u32 v21, 50, v162
	s_delay_alu instid0(VALU_DEP_1) | instskip(NEXT) | instid1(VALU_DEP_1)
	v_mul_lo_u32 v21, s8, v21
	v_add3_u32 v21, s6, v33, v21
	s_delay_alu instid0(VALU_DEP_1) | instskip(NEXT) | instid1(VALU_DEP_1)
	v_lshlrev_b64_e32 v[21:22], 3, v[21:22]
	v_add_co_u32 v21, s2, s4, v21
	s_wait_alu 0xf1ff
	s_delay_alu instid0(VALU_DEP_2)
	v_add_co_ci_u32_e64 v22, s2, s5, v22, s2
	global_load_b64 v[21:22], v[21:22], off
.LBB0_24:
	s_wait_alu 0xfffe
	s_or_b32 exec_lo, exec_lo, s9
	v_mov_b32_e32 v23, 0
	s_and_saveexec_b32 s9, s7
	s_cbranch_execz .LBB0_26
; %bb.25:
	v_dual_mov_b32 v24, 0 :: v_dual_add_nc_u32 v23, 0x82, v162
	s_delay_alu instid0(VALU_DEP_1) | instskip(NEXT) | instid1(VALU_DEP_1)
	v_mul_lo_u32 v23, s8, v23
	v_add3_u32 v23, s6, v33, v23
	s_delay_alu instid0(VALU_DEP_1) | instskip(NEXT) | instid1(VALU_DEP_1)
	v_lshlrev_b64_e32 v[23:24], 3, v[23:24]
	v_add_co_u32 v23, s2, s4, v23
	s_wait_alu 0xf1ff
	s_delay_alu instid0(VALU_DEP_2)
	v_add_co_ci_u32_e64 v24, s2, s5, v24, s2
	global_load_b64 v[23:24], v[23:24], off
.LBB0_26:
	s_wait_alu 0xfffe
	s_or_b32 exec_lo, exec_lo, s9
	v_dual_mov_b32 v28, 0 :: v_dual_mov_b32 v25, 0
	v_mov_b32_e32 v26, 0
	s_and_saveexec_b32 s9, s7
	s_cbranch_execz .LBB0_28
; %bb.27:
	v_dual_mov_b32 v26, 0 :: v_dual_add_nc_u32 v25, 60, v162
	s_delay_alu instid0(VALU_DEP_1) | instskip(NEXT) | instid1(VALU_DEP_1)
	v_mul_lo_u32 v25, s8, v25
	v_add3_u32 v25, s6, v33, v25
	s_delay_alu instid0(VALU_DEP_1) | instskip(NEXT) | instid1(VALU_DEP_1)
	v_lshlrev_b64_e32 v[25:26], 3, v[25:26]
	v_add_co_u32 v25, s2, s4, v25
	s_wait_alu 0xf1ff
	s_delay_alu instid0(VALU_DEP_2)
	v_add_co_ci_u32_e64 v26, s2, s5, v26, s2
	global_load_b64 v[25:26], v[25:26], off
.LBB0_28:
	s_wait_alu 0xfffe
	s_or_b32 exec_lo, exec_lo, s9
	v_mov_b32_e32 v27, 0
	s_and_saveexec_b32 s9, s7
	s_cbranch_execz .LBB0_30
; %bb.29:
	v_dual_mov_b32 v28, 0 :: v_dual_add_nc_u32 v27, 0x8c, v162
	s_delay_alu instid0(VALU_DEP_1) | instskip(NEXT) | instid1(VALU_DEP_1)
	v_mul_lo_u32 v27, s8, v27
	v_add3_u32 v27, s6, v33, v27
	s_delay_alu instid0(VALU_DEP_1) | instskip(NEXT) | instid1(VALU_DEP_1)
	v_lshlrev_b64_e32 v[27:28], 3, v[27:28]
	v_add_co_u32 v27, s2, s4, v27
	s_wait_alu 0xf1ff
	s_delay_alu instid0(VALU_DEP_2)
	v_add_co_ci_u32_e64 v28, s2, s5, v28, s2
	global_load_b64 v[27:28], v[27:28], off
.LBB0_30:
	s_wait_alu 0xfffe
	s_or_b32 exec_lo, exec_lo, s9
	s_load_b64 s[10:11], s[0:1], 0x0
	v_dual_mov_b32 v32, 0 :: v_dual_mov_b32 v29, 0
	v_mov_b32_e32 v30, 0
	s_and_saveexec_b32 s9, s7
	s_cbranch_execz .LBB0_32
; %bb.31:
	v_dual_mov_b32 v30, 0 :: v_dual_add_nc_u32 v29, 0x46, v162
	s_delay_alu instid0(VALU_DEP_1) | instskip(NEXT) | instid1(VALU_DEP_1)
	v_mul_lo_u32 v29, s8, v29
	v_add3_u32 v29, s6, v33, v29
	s_delay_alu instid0(VALU_DEP_1) | instskip(NEXT) | instid1(VALU_DEP_1)
	v_lshlrev_b64_e32 v[29:30], 3, v[29:30]
	v_add_co_u32 v29, s2, s4, v29
	s_wait_alu 0xf1ff
	s_delay_alu instid0(VALU_DEP_2)
	v_add_co_ci_u32_e64 v30, s2, s5, v30, s2
	global_load_b64 v[29:30], v[29:30], off
.LBB0_32:
	s_wait_alu 0xfffe
	s_or_b32 exec_lo, exec_lo, s9
	v_mov_b32_e32 v31, 0
	s_and_saveexec_b32 s9, s7
	s_cbranch_execz .LBB0_34
; %bb.33:
	v_dual_mov_b32 v32, 0 :: v_dual_add_nc_u32 v31, 0x96, v162
	s_delay_alu instid0(VALU_DEP_1) | instskip(NEXT) | instid1(VALU_DEP_1)
	v_mul_lo_u32 v31, s8, v31
	v_add3_u32 v31, s6, v33, v31
	s_delay_alu instid0(VALU_DEP_1) | instskip(NEXT) | instid1(VALU_DEP_1)
	v_lshlrev_b64_e32 v[31:32], 3, v[31:32]
	v_add_co_u32 v31, s2, s4, v31
	s_wait_alu 0xf1ff
	s_delay_alu instid0(VALU_DEP_2)
	v_add_co_ci_u32_e64 v32, s2, s5, v32, s2
	global_load_b64 v[31:32], v[31:32], off
.LBB0_34:
	s_wait_alu 0xfffe
	s_or_b32 exec_lo, exec_lo, s9
	s_wait_loadcnt 0x0
	v_dual_sub_f32 v3, v1, v3 :: v_dual_sub_f32 v38, v6, v8
	v_dual_sub_f32 v37, v2, v4 :: v_dual_sub_f32 v4, v5, v7
	;; [unrolled: 1-line block ×3, first 2 shown]
	v_sub_f32_e32 v43, v10, v12
	s_delay_alu instid0(VALU_DEP_4)
	v_fma_f32 v44, v6, 2.0, -v38
	v_sub_f32_e32 v6, v13, v15
	v_fma_f32 v42, v2, 2.0, -v37
	v_fma_f32 v2, v5, 2.0, -v4
	;; [unrolled: 1-line block ×4, first 2 shown]
	v_dual_sub_f32 v8, v17, v19 :: v_dual_sub_f32 v19, v18, v20
	v_fma_f32 v9, v13, 2.0, -v6
	v_dual_sub_f32 v10, v21, v23 :: v_dual_lshlrev_b32 v23, 2, v36
	v_mul_u32_u24_e32 v13, 0xa0, v162
	s_delay_alu instid0(VALU_DEP_4) | instskip(SKIP_2) | instid1(VALU_DEP_4)
	v_fma_f32 v11, v17, 2.0, -v8
	v_fma_f32 v17, v18, 2.0, -v19
	v_dual_sub_f32 v18, v22, v24 :: v_dual_sub_f32 v15, v29, v31
	v_add3_u32 v31, 0, v13, v23
	v_fma_f32 v1, v1, 2.0, -v3
	v_sub_f32_e32 v32, v30, v32
	v_fma_f32 v20, v14, 2.0, -v46
	v_fma_f32 v16, v29, 2.0, -v15
	v_add_nc_u32_e32 v29, 0x400, v31
	v_add_nc_u32_e32 v47, 0xc00, v31
	;; [unrolled: 1-line block ×3, first 2 shown]
	v_sub_f32_e32 v14, v25, v27
	ds_store_2addr_b32 v31, v1, v3 offset1:20
	ds_store_2addr_b32 v29, v2, v4 offset0:144 offset1:164
	ds_store_2addr_b32 v47, v5, v7 offset0:32 offset1:52
	;; [unrolled: 1-line block ×3, first 2 shown]
	v_add_nc_u32_e32 v1, 0x1900, v31
	v_fma_f32 v12, v21, 2.0, -v10
	v_sub_f32_e32 v21, v26, v28
	v_mad_i32_i24 v39, 0xffffffb0, v162, v31
	v_fma_f32 v13, v25, 2.0, -v14
	v_mad_i32_i24 v25, 0xffffffb0, v35, v1
	v_add_nc_u32_e32 v49, 0x1800, v31
	v_fma_f32 v36, v26, 2.0, -v21
	v_add_nc_u32_e32 v51, 0x2400, v31
	v_add_nc_u32_e32 v26, 0x2200, v39
	;; [unrolled: 1-line block ×9, first 2 shown]
	ds_store_2addr_b32 v49, v11, v8 offset0:64 offset1:84
	ds_store_2addr_b32 v50, v12, v10 offset0:208 offset1:228
	;; [unrolled: 1-line block ×4, first 2 shown]
	global_wb scope:SCOPE_SE
	s_wait_dscnt 0x0
	s_wait_kmcnt 0x0
	s_barrier_signal -1
	s_barrier_wait -1
	global_inv scope:SCOPE_SE
	ds_load_b32 v16, v25
	ds_load_2addr_b32 v[3:4], v24 offset0:24 offset1:224
	ds_load_2addr_b32 v[5:6], v26 offset0:24 offset1:224
	ds_load_2addr_b32 v[1:2], v40 offset1:200
	ds_load_2addr_b32 v[11:12], v27 offset0:40 offset1:240
	ds_load_2addr_b32 v[9:10], v28 offset0:8 offset1:208
	;; [unrolled: 1-line block ×3, first 2 shown]
	ds_load_b32 v13, v40 offset:1600
	ds_load_b32 v14, v39
	ds_load_b32 v15, v39 offset:12000
	v_and_b32_e32 v35, 1, v162
	global_wb scope:SCOPE_SE
	s_wait_dscnt 0x0
	s_barrier_signal -1
	s_barrier_wait -1
	global_inv scope:SCOPE_SE
	ds_store_2addr_b32 v31, v42, v37 offset1:20
	ds_store_2addr_b32 v29, v44, v38 offset0:144 offset1:164
	ds_store_2addr_b32 v47, v45, v43 offset0:32 offset1:52
	ds_store_2addr_b32 v48, v20, v46 offset0:176 offset1:196
	v_mul_u32_u24_e32 v20, 3, v35
	v_fma_f32 v22, v22, 2.0, -v18
	v_fma_f32 v30, v30, 2.0, -v32
	ds_store_2addr_b32 v49, v17, v19 offset0:64 offset1:84
	ds_store_2addr_b32 v50, v22, v18 offset0:208 offset1:228
	;; [unrolled: 1-line block ×4, first 2 shown]
	v_lshlrev_b32_e32 v21, 3, v20
	global_wb scope:SCOPE_SE
	s_wait_dscnt 0x0
	s_barrier_signal -1
	s_barrier_wait -1
	global_inv scope:SCOPE_SE
	s_clause 0x1
	global_load_b128 v[17:20], v21, s[10:11]
	global_load_b64 v[21:22], v21, s[10:11] offset:16
	ds_load_b32 v53, v25
	v_and_b32_e32 v49, 7, v161
	v_lshlrev_b32_e32 v31, 2, v162
	v_lshlrev_b32_e32 v32, 2, v161
	;; [unrolled: 1-line block ×4, first 2 shown]
	v_mul_u32_u24_e32 v38, 3, v49
	v_and_b32_e32 v51, 7, v159
	v_cmp_gt_u32_e64 s2, 40, v0
	s_wait_loadcnt 0x1
	v_mul_f32_e32 v64, v16, v18
	v_dual_mul_f32 v72, v9, v20 :: v_dual_lshlrev_b32 v55, 3, v38
	v_mul_f32_e32 v78, v10, v20
	v_and_or_b32 v29, v31, 56, v35
	s_wait_dscnt 0x0
	v_fmac_f32_e32 v64, v53, v17
	v_and_b32_e32 v48, 7, v162
	v_and_or_b32 v30, 0x78, v32, v35
	v_and_or_b32 v36, 0xf8, v164, v35
	v_mul_u32_u24_e32 v42, 0x50, v29
	s_wait_loadcnt 0x0
	v_mul_f32_e32 v74, v7, v22
	v_mul_u32_u24_e32 v37, 3, v48
	v_mul_u32_u24_e32 v43, 0x50, v30
	;; [unrolled: 1-line block ×3, first 2 shown]
	v_add3_u32 v56, 0, v42, v23
	v_mul_f32_e32 v80, v8, v22
	v_lshlrev_b32_e32 v54, 3, v37
	ds_load_2addr_b32 v[37:38], v27 offset0:40 offset1:240
	v_add3_u32 v59, 0, v43, v23
	v_add3_u32 v60, 0, v44, v23
	ds_load_2addr_b32 v[44:45], v41 offset0:40 offset1:240
	v_and_or_b32 v35, 0xf8, v163, v35
	v_dual_mul_f32 v63, v53, v18 :: v_dual_mul_f32 v66, v4, v20
	v_mul_f32_e32 v68, v6, v22
	v_mul_f32_e32 v70, v11, v18
	s_delay_alu instid0(VALU_DEP_4) | instskip(SKIP_2) | instid1(VALU_DEP_3)
	v_mul_u32_u24_e32 v46, 0x50, v35
	v_mul_f32_e32 v76, v12, v18
	v_fma_f32 v16, v16, v17, -v63
	v_add3_u32 v61, 0, v46, v23
	s_wait_dscnt 0x1
	v_mul_f32_e32 v75, v38, v18
	ds_load_2addr_b32 v[42:43], v28 offset0:8 offset1:208
	v_mul_f32_e32 v69, v37, v18
	ds_load_2addr_b32 v[29:30], v24 offset0:24 offset1:224
	s_wait_dscnt 0x2
	v_dual_mul_f32 v73, v44, v22 :: v_dual_and_b32 v50, 7, v160
	v_mul_f32_e32 v79, v45, v22
	v_fma_f32 v11, v11, v17, -v69
	v_fma_f32 v12, v12, v17, -v75
	s_delay_alu instid0(VALU_DEP_4) | instskip(SKIP_2) | instid1(VALU_DEP_1)
	v_fma_f32 v7, v7, v21, -v73
	v_fmac_f32_e32 v74, v44, v21
	v_fma_f32 v8, v8, v21, -v79
	v_dual_sub_f32 v7, v11, v7 :: v_dual_sub_f32 v8, v12, v8
	s_delay_alu instid0(VALU_DEP_1)
	v_fma_f32 v11, v11, 2.0, -v7
	s_wait_dscnt 0x1
	v_mul_f32_e32 v71, v42, v20
	ds_load_2addr_b32 v[35:36], v26 offset0:24 offset1:224
	ds_load_2addr_b32 v[46:47], v40 offset1:200
	ds_load_b32 v57, v40 offset:1600
	ds_load_b32 v58, v39
	ds_load_b32 v62, v39 offset:12000
	s_wait_dscnt 0x5
	v_mul_f32_e32 v81, v29, v18
	v_mul_f32_e32 v65, v30, v20
	;; [unrolled: 1-line block ×4, first 2 shown]
	v_fma_f32 v9, v9, v19, -v71
	v_fma_f32 v3, v3, v17, -v81
	;; [unrolled: 1-line block ×4, first 2 shown]
	v_fma_f32 v12, v12, 2.0, -v8
	v_sub_f32_e32 v9, v1, v9
	v_mul_u32_u24_e32 v52, 3, v50
	global_wb scope:SCOPE_SE
	s_wait_dscnt 0x0
	s_barrier_signal -1
	s_barrier_wait -1
	v_fma_f32 v1, v1, 2.0, -v9
	global_inv scope:SCOPE_SE
	v_dual_mul_f32 v82, v35, v20 :: v_dual_mul_f32 v83, v62, v22
	v_dual_mul_f32 v67, v36, v22 :: v_dual_mul_f32 v20, v5, v20
	v_mul_f32_e32 v22, v15, v22
	s_delay_alu instid0(VALU_DEP_3) | instskip(NEXT) | instid1(VALU_DEP_4)
	v_fma_f32 v5, v5, v19, -v82
	v_fma_f32 v15, v15, v21, -v83
	v_fmac_f32_e32 v72, v42, v19
	v_fmac_f32_e32 v76, v38, v17
	v_fma_f32 v6, v6, v21, -v67
	v_sub_f32_e32 v5, v13, v5
	v_dual_sub_f32 v15, v3, v15 :: v_dual_fmac_f32 v70, v37, v17
	v_sub_f32_e32 v4, v14, v4
	v_fmac_f32_e32 v80, v45, v21
	s_delay_alu instid0(VALU_DEP_4) | instskip(NEXT) | instid1(VALU_DEP_4)
	v_fma_f32 v13, v13, 2.0, -v5
	v_fma_f32 v3, v3, 2.0, -v15
	v_fmac_f32_e32 v66, v30, v19
	v_fmac_f32_e32 v20, v35, v19
	;; [unrolled: 1-line block ×3, first 2 shown]
	s_delay_alu instid0(VALU_DEP_4)
	v_dual_sub_f32 v10, v2, v10 :: v_dual_sub_f32 v3, v13, v3
	v_sub_f32_e32 v35, v76, v80
	v_fmac_f32_e32 v68, v36, v21
	v_dual_fmac_f32 v18, v29, v17 :: v_dual_sub_f32 v21, v46, v72
	v_dual_fmac_f32 v78, v43, v19 :: v_dual_sub_f32 v29, v70, v74
	v_dual_sub_f32 v6, v16, v6 :: v_dual_sub_f32 v11, v1, v11
	v_sub_f32_e32 v17, v58, v66
	v_sub_f32_e32 v19, v64, v68
	s_delay_alu instid0(VALU_DEP_4)
	v_fma_f32 v42, v70, 2.0, -v29
	v_sub_f32_e32 v29, v9, v29
	v_sub_f32_e32 v20, v57, v20
	v_fma_f32 v16, v16, 2.0, -v6
	v_add_f32_e32 v7, v21, v7
	v_fma_f32 v2, v2, 2.0, -v10
	v_fma_f32 v44, v76, 2.0, -v35
	v_add_f32_e32 v15, v20, v15
	v_fma_f32 v14, v14, 2.0, -v4
	v_sub_f32_e32 v35, v10, v35
	v_sub_f32_e32 v22, v18, v22
	v_fma_f32 v37, v64, 2.0, -v19
	s_delay_alu instid0(VALU_DEP_4) | instskip(SKIP_1) | instid1(VALU_DEP_4)
	v_dual_sub_f32 v19, v4, v19 :: v_dual_sub_f32 v16, v14, v16
	v_sub_f32_e32 v12, v2, v12
	v_fma_f32 v18, v18, 2.0, -v22
	v_sub_f32_e32 v22, v5, v22
	v_sub_f32_e32 v30, v47, v78
	v_fma_f32 v36, v58, 2.0, -v17
	v_fma_f32 v4, v4, 2.0, -v19
	;; [unrolled: 1-line block ×10, first 2 shown]
	ds_store_2addr_b32 v56, v16, v19 offset0:80 offset1:120
	ds_store_2addr_b32 v56, v14, v4 offset1:40
	ds_store_2addr_b32 v59, v1, v9 offset1:40
	ds_store_2addr_b32 v59, v11, v29 offset0:80 offset1:120
	ds_store_2addr_b32 v60, v2, v10 offset1:40
	ds_store_2addr_b32 v60, v12, v35 offset0:80 offset1:120
	;; [unrolled: 2-line block ×3, first 2 shown]
	v_lshlrev_b32_e32 v5, 3, v52
	v_fma_f32 v43, v47, 2.0, -v30
	v_mul_u32_u24_e32 v1, 3, v51
	v_add_f32_e32 v6, v17, v6
	v_fma_f32 v45, v57, 2.0, -v20
	v_sub_f32_e32 v46, v36, v37
	v_sub_f32_e32 v42, v38, v42
	v_dual_sub_f32 v44, v43, v44 :: v_dual_lshlrev_b32 v29, 3, v1
	v_add_f32_e32 v8, v30, v8
	v_fma_f32 v47, v17, 2.0, -v6
	v_sub_f32_e32 v62, v45, v18
	v_fma_f32 v64, v36, 2.0, -v46
	v_fma_f32 v53, v21, 2.0, -v7
	;; [unrolled: 1-line block ×7, first 2 shown]
	global_wb scope:SCOPE_SE
	s_wait_dscnt 0x0
	s_barrier_signal -1
	s_barrier_wait -1
	global_inv scope:SCOPE_SE
	ds_load_b32 v71, v25
	ds_load_2addr_b32 v[21:22], v24 offset0:24 offset1:224
	ds_load_2addr_b32 v[17:18], v26 offset0:24 offset1:224
	ds_load_2addr_b32 v[35:36], v40 offset1:200
	ds_load_2addr_b32 v[37:38], v27 offset0:40 offset1:240
	ds_load_2addr_b32 v[19:20], v28 offset0:8 offset1:208
	;; [unrolled: 1-line block ×3, first 2 shown]
	ds_load_b32 v72, v40 offset:1600
	ds_load_b32 v73, v39
	ds_load_b32 v74, v39 offset:12000
	global_wb scope:SCOPE_SE
	s_wait_dscnt 0x0
	s_barrier_signal -1
	s_barrier_wait -1
	global_inv scope:SCOPE_SE
	ds_store_2addr_b32 v56, v64, v47 offset1:40
	ds_store_2addr_b32 v56, v46, v6 offset0:80 offset1:120
	ds_store_2addr_b32 v59, v65, v53 offset1:40
	ds_store_2addr_b32 v59, v42, v7 offset0:80 offset1:120
	;; [unrolled: 2-line block ×4, first 2 shown]
	global_wb scope:SCOPE_SE
	s_wait_dscnt 0x0
	s_barrier_signal -1
	s_barrier_wait -1
	global_inv scope:SCOPE_SE
	s_clause 0x7
	global_load_b128 v[9:12], v54, s[10:11] offset:48
	global_load_b64 v[59:60], v54, s[10:11] offset:64
	global_load_b128 v[13:16], v55, s[10:11] offset:48
	global_load_b64 v[61:62], v55, s[10:11] offset:64
	;; [unrolled: 2-line block ×4, first 2 shown]
	v_and_or_b32 v29, v31, 32, v48
	v_and_or_b32 v30, 0x60, v32, v49
	;; [unrolled: 1-line block ×4, first 2 shown]
	ds_load_b32 v75, v25
	v_mul_u32_u24_e32 v29, 0x50, v29
	v_mul_u32_u24_e32 v30, 0x50, v30
	;; [unrolled: 1-line block ×4, first 2 shown]
	v_add_nc_u32_e32 v47, 0x1a40, v39
	v_add3_u32 v46, 0, v29, v23
	v_add3_u32 v44, 0, v30, v23
	ds_load_2addr_b32 v[29:30], v24 offset0:24 offset1:224
	ds_load_2addr_b32 v[25:26], v26 offset0:24 offset1:224
	;; [unrolled: 1-line block ×5, first 2 shown]
	v_add3_u32 v43, 0, v42, v23
	v_add3_u32 v42, 0, v45, v23
	ds_load_2addr_b32 v[23:24], v40 offset1:200
	ds_load_b32 v54, v40 offset:1600
	ds_load_b32 v55, v39
	ds_load_b32 v76, v39 offset:12000
	v_add_nc_u32_e32 v48, 0xd00, v39
	v_add_nc_u32_e32 v51, 0x400, v46
	;; [unrolled: 1-line block ×5, first 2 shown]
	global_wb scope:SCOPE_SE
	s_wait_loadcnt_dscnt 0x0
	s_barrier_signal -1
	s_barrier_wait -1
	global_inv scope:SCOPE_SE
	v_mul_f32_e32 v82, v68, v2
	v_mul_f32_e32 v84, v70, v64
	;; [unrolled: 1-line block ×3, first 2 shown]
	v_dual_mul_f32 v64, v58, v64 :: v_dual_mul_f32 v85, v29, v6
	v_mul_f32_e32 v6, v21, v6
	v_mul_f32_e32 v87, v76, v66
	;; [unrolled: 1-line block ×3, first 2 shown]
	v_fma_f32 v38, v38, v1, -v82
	v_fma_f32 v58, v58, v63, -v84
	v_dual_mul_f32 v86, v25, v8 :: v_dual_mul_f32 v77, v75, v10
	v_mul_f32_e32 v56, v71, v10
	v_mul_f32_e32 v10, v37, v14
	v_fmac_f32_e32 v64, v70, v63
	v_fma_f32 v63, v21, v5, -v85
	v_fmac_f32_e32 v6, v29, v5
	v_dual_fmac_f32 v66, v76, v65 :: v_dual_sub_f32 v5, v38, v58
	v_fma_f32 v21, v17, v7, -v86
	v_mul_f32_e32 v79, v26, v60
	v_dual_mul_f32 v81, v69, v62 :: v_dual_fmac_f32 v56, v75, v9
	v_fmac_f32_e32 v10, v67, v13
	s_delay_alu instid0(VALU_DEP_4)
	v_dual_sub_f32 v58, v72, v21 :: v_dual_sub_f32 v21, v6, v66
	v_mul_f32_e32 v80, v67, v14
	v_fma_f32 v67, v74, v65, -v87
	v_mul_f32_e32 v60, v18, v60
	v_fmac_f32_e32 v2, v68, v1
	v_sub_f32_e32 v165, v58, v21
	v_fma_f32 v37, v37, v13, -v80
	s_delay_alu instid0(VALU_DEP_4)
	v_dual_mul_f32 v83, v28, v4 :: v_dual_fmac_f32 v60, v26, v59
	v_fma_f32 v26, v57, v61, -v81
	v_mul_f32_e32 v78, v30, v12
	v_fma_f32 v18, v18, v59, -v79
	v_fma_f32 v59, v71, v9, -v77
	v_fma_f32 v38, v38, 2.0, -v5
	v_sub_f32_e32 v1, v37, v26
	v_fma_f32 v9, v22, v11, -v78
	v_add_nc_u32_e32 v52, 0x400, v43
	v_sub_f32_e32 v26, v2, v64
	v_fma_f32 v66, v72, 2.0, -v58
	v_fma_f32 v37, v37, 2.0, -v1
	v_sub_f32_e32 v65, v73, v9
	v_dual_mul_f32 v62, v57, v62 :: v_dual_sub_f32 v9, v63, v67
	v_sub_f32_e32 v57, v56, v60
	v_fma_f32 v58, v58, 2.0, -v165
	s_delay_alu instid0(VALU_DEP_4) | instskip(NEXT) | instid1(VALU_DEP_4)
	v_fma_f32 v60, v73, 2.0, -v65
	v_fmac_f32_e32 v62, v69, v61
	v_mul_f32_e32 v14, v27, v16
	v_fma_f32 v61, v20, v3, -v83
	v_fma_f32 v63, v63, 2.0, -v9
	s_delay_alu instid0(VALU_DEP_4) | instskip(NEXT) | instid1(VALU_DEP_4)
	v_sub_f32_e32 v29, v10, v62
	v_fma_f32 v13, v19, v15, -v14
	v_sub_f32_e32 v14, v59, v18
	v_add_nc_u32_e32 v50, 0x400, v42
	v_sub_f32_e32 v18, v36, v61
	v_sub_f32_e32 v61, v65, v57
	;; [unrolled: 1-line block ×3, first 2 shown]
	v_fma_f32 v59, v59, 2.0, -v14
	v_sub_f32_e32 v63, v66, v63
	v_fma_f32 v36, v36, 2.0, -v18
	v_sub_f32_e32 v64, v18, v26
	v_fma_f32 v35, v35, 2.0, -v13
	v_dual_sub_f32 v59, v60, v59 :: v_dual_sub_f32 v62, v13, v29
	s_delay_alu instid0(VALU_DEP_4) | instskip(SKIP_1) | instid1(VALU_DEP_4)
	v_sub_f32_e32 v38, v36, v38
	v_fma_f32 v65, v65, 2.0, -v61
	v_sub_f32_e32 v37, v35, v37
	s_delay_alu instid0(VALU_DEP_4)
	v_fma_f32 v60, v60, 2.0, -v59
	v_fma_f32 v13, v13, 2.0, -v62
	v_fma_f32 v18, v18, 2.0, -v64
	v_fma_f32 v36, v36, 2.0, -v38
	v_fma_f32 v35, v35, 2.0, -v37
	v_fma_f32 v66, v66, 2.0, -v63
	ds_store_2addr_b32 v51, v59, v61 offset0:64 offset1:224
	ds_store_2addr_b32 v46, v60, v65 offset1:160
	ds_store_2addr_b32 v44, v35, v13 offset1:160
	ds_store_2addr_b32 v53, v37, v62 offset0:64 offset1:224
	ds_store_2addr_b32 v43, v36, v18 offset1:160
	ds_store_2addr_b32 v52, v38, v64 offset0:64 offset1:224
	;; [unrolled: 2-line block ×3, first 2 shown]
	global_wb scope:SCOPE_SE
	s_wait_dscnt 0x0
	s_barrier_signal -1
	s_barrier_wait -1
	global_inv scope:SCOPE_SE
	ds_load_2addr_stride64_b32 v[73:74], v39 offset1:10
	ds_load_2addr_b32 v[79:80], v45 offset1:200
	ds_load_2addr_b32 v[77:78], v47 offset1:240
	;; [unrolled: 1-line block ×4, first 2 shown]
	ds_load_2addr_b32 v[93:94], v48 offset0:8 offset1:208
	ds_load_2addr_b32 v[91:92], v49 offset0:8 offset1:208
	ds_load_b32 v168, v39 offset:11840
	v_add_nc_u32_e32 v18, 0x320, v40
	v_add_nc_u32_e32 v13, 0x640, v40
                                        ; implicit-def: $vgpr36
                                        ; implicit-def: $vgpr38
	s_and_saveexec_b32 s9, s2
	s_cbranch_execz .LBB0_36
; %bb.35:
	v_add_nc_u32_e32 v35, 0x60, v39
	ds_load_b32 v165, v13
	ds_load_2addr_stride64_b32 v[37:38], v35 offset0:19 offset1:29
	ds_load_2addr_stride64_b32 v[35:36], v35 offset0:39 offset1:49
.LBB0_36:
	s_wait_alu 0xfffe
	s_or_b32 exec_lo, exec_lo, s9
	v_mul_f32_e32 v8, v17, v8
	v_mul_f32_e32 v16, v19, v16
	v_fma_f32 v10, v10, 2.0, -v29
	v_fma_f32 v2, v2, 2.0, -v26
	global_wb scope:SCOPE_SE
	s_wait_dscnt 0x0
	v_fmac_f32_e32 v8, v25, v7
	v_fmac_f32_e32 v16, v27, v15
	s_barrier_signal -1
	s_barrier_wait -1
	global_inv scope:SCOPE_SE
	v_sub_f32_e32 v8, v54, v8
                                        ; implicit-def: $vgpr70
                                        ; implicit-def: $vgpr72
	s_delay_alu instid0(VALU_DEP_1) | instskip(SKIP_2) | instid1(VALU_DEP_2)
	v_fma_f32 v17, v54, 2.0, -v8
	v_mul_f32_e32 v4, v20, v4
	v_dual_sub_f32 v15, v23, v16 :: v_dual_add_f32 v166, v8, v9
	v_fmac_f32_e32 v4, v28, v3
	s_delay_alu instid0(VALU_DEP_2) | instskip(SKIP_2) | instid1(VALU_DEP_4)
	v_dual_mul_f32 v12, v22, v12 :: v_dual_add_f32 v1, v15, v1
	v_fma_f32 v3, v6, 2.0, -v21
	v_fma_f32 v7, v23, 2.0, -v15
	v_sub_f32_e32 v4, v24, v4
	s_delay_alu instid0(VALU_DEP_4) | instskip(SKIP_1) | instid1(VALU_DEP_4)
	v_fmac_f32_e32 v12, v30, v11
	v_fma_f32 v11, v56, 2.0, -v57
	v_dual_sub_f32 v3, v17, v3 :: v_dual_sub_f32 v10, v7, v10
	s_delay_alu instid0(VALU_DEP_4) | instskip(NEXT) | instid1(VALU_DEP_4)
	v_fma_f32 v16, v24, 2.0, -v4
	v_dual_sub_f32 v12, v55, v12 :: v_dual_add_f32 v5, v4, v5
	v_fma_f32 v9, v15, 2.0, -v1
	s_delay_alu instid0(VALU_DEP_4) | instskip(NEXT) | instid1(VALU_DEP_4)
	v_fma_f32 v7, v7, 2.0, -v10
	v_sub_f32_e32 v2, v16, v2
	s_delay_alu instid0(VALU_DEP_4)
	v_fma_f32 v6, v55, 2.0, -v12
	v_add_f32_e32 v14, v12, v14
	v_fma_f32 v4, v4, 2.0, -v5
	v_fma_f32 v8, v8, 2.0, -v166
	;; [unrolled: 1-line block ×3, first 2 shown]
	v_sub_f32_e32 v11, v6, v11
	v_fma_f32 v12, v12, 2.0, -v14
	v_fma_f32 v16, v17, 2.0, -v3
	s_delay_alu instid0(VALU_DEP_3)
	v_fma_f32 v6, v6, 2.0, -v11
	ds_store_2addr_b32 v46, v6, v12 offset1:160
	ds_store_2addr_b32 v51, v11, v14 offset0:64 offset1:224
	ds_store_2addr_b32 v44, v7, v9 offset1:160
	ds_store_2addr_b32 v53, v10, v1 offset0:64 offset1:224
	;; [unrolled: 2-line block ×4, first 2 shown]
	global_wb scope:SCOPE_SE
	s_wait_dscnt 0x0
	s_barrier_signal -1
	s_barrier_wait -1
	global_inv scope:SCOPE_SE
	ds_load_2addr_stride64_b32 v[81:82], v39 offset1:10
	ds_load_2addr_b32 v[89:90], v45 offset1:200
	ds_load_2addr_b32 v[87:88], v47 offset1:240
	;; [unrolled: 1-line block ×3, first 2 shown]
	ds_load_b32 v167, v40
	ds_load_2addr_b32 v[97:98], v48 offset0:8 offset1:208
	ds_load_2addr_b32 v[95:96], v49 offset0:8 offset1:208
	ds_load_b32 v169, v18
	ds_load_b32 v170, v39 offset:11840
	s_and_saveexec_b32 s9, s2
	s_cbranch_execz .LBB0_38
; %bb.37:
	v_add_nc_u32_e32 v1, 0x60, v39
	ds_load_b32 v166, v13
	ds_load_2addr_stride64_b32 v[71:72], v1 offset0:19 offset1:29
	ds_load_2addr_stride64_b32 v[69:70], v1 offset0:39 offset1:49
.LBB0_38:
	s_wait_alu 0xfffe
	s_or_b32 exec_lo, exec_lo, s9
	v_and_b32_e32 v9, 31, v159
	s_load_b64 s[0:1], s[0:1], 0x8
	v_and_b32_e32 v1, 0x7c, v163
	s_delay_alu instid0(VALU_DEP_2)
	v_or_b32_e32 v11, 32, v9
	v_mul_lo_u32 v10, v34, v9
	v_or_b32_e32 v12, 64, v9
	v_or_b32_e32 v13, 0x60, v9
	;; [unrolled: 1-line block ×3, first 2 shown]
	v_mul_lo_u32 v11, v34, v11
	v_lshlrev_b32_e32 v5, 3, v1
	v_mul_lo_u32 v12, v34, v12
	v_mul_lo_u32 v13, v34, v13
	v_and_b32_e32 v14, 0xff, v10
	v_lshrrev_b32_e32 v15, 5, v10
	v_lshrrev_b32_e32 v10, 13, v10
	v_mul_lo_u32 v9, v34, v9
	v_and_b32_e32 v16, 0xff, v11
	v_lshlrev_b32_e32 v14, 3, v14
	v_lshrrev_b32_e32 v17, 5, v11
	v_and_b32_e32 v15, 0x7f8, v15
	v_lshrrev_b32_e32 v11, 13, v11
	v_and_b32_e32 v10, 0x7f8, v10
	v_and_b32_e32 v18, 0xff, v12
	v_lshlrev_b32_e32 v16, 3, v16
	v_lshrrev_b32_e32 v19, 5, v12
	s_clause 0x1
	global_load_b128 v[1:4], v5, s[10:11] offset:256
	global_load_b128 v[5:8], v5, s[10:11] offset:240
	s_wait_kmcnt 0x0
	s_clause 0x3
	global_load_b64 v[63:64], v14, s[0:1]
	global_load_b64 v[67:68], v15, s[0:1] offset:2048
	global_load_b64 v[55:56], v10, s[0:1] offset:4096
	global_load_b64 v[61:62], v16, s[0:1]
	v_and_b32_e32 v10, 0x7f8, v17
	v_lshrrev_b32_e32 v12, 13, v12
	v_and_b32_e32 v11, 0x7f8, v11
	v_lshlrev_b32_e32 v14, 3, v18
	v_and_b32_e32 v15, 0x7f8, v19
	v_and_b32_e32 v16, 0xff, v13
	s_clause 0x3
	global_load_b64 v[65:66], v10, s[0:1] offset:2048
	global_load_b64 v[57:58], v11, s[0:1] offset:4096
	global_load_b64 v[51:52], v14, s[0:1]
	global_load_b64 v[59:60], v15, s[0:1] offset:2048
	v_and_b32_e32 v10, 0x7f8, v12
	v_lshrrev_b32_e32 v12, 5, v13
	v_lshrrev_b32_e32 v13, 13, v13
	v_and_b32_e32 v14, 0xff, v9
	v_lshrrev_b32_e32 v15, 5, v9
	v_lshrrev_b32_e32 v9, 13, v9
	v_lshlrev_b32_e32 v11, 3, v16
	v_and_b32_e32 v12, 0x7f8, v12
	v_and_b32_e32 v13, 0x7f8, v13
	v_lshlrev_b32_e32 v14, 3, v14
	v_and_b32_e32 v15, 0x7f8, v15
	v_and_b32_e32 v9, 0x7f8, v9
	s_clause 0x6
	global_load_b64 v[53:54], v10, s[0:1] offset:4096
	global_load_b64 v[47:48], v11, s[0:1]
	global_load_b64 v[49:50], v12, s[0:1] offset:2048
	global_load_b64 v[41:42], v13, s[0:1] offset:4096
	global_load_b64 v[43:44], v14, s[0:1]
	global_load_b64 v[45:46], v15, s[0:1] offset:2048
	global_load_b64 v[39:40], v9, s[0:1] offset:4096
	s_and_saveexec_b32 s2, s7
	s_cbranch_execz .LBB0_40
; %bb.39:
	v_and_b32_e32 v9, 0x7c, v164
	v_or_b32_e32 v171, 0x80, v161
	v_or_b32_e32 v172, 0x60, v161
	;; [unrolled: 1-line block ×3, first 2 shown]
	v_mul_lo_u32 v181, v34, v162
	v_lshlrev_b32_e32 v9, 3, v9
	v_mul_lo_u32 v28, v34, v171
	v_mul_lo_u32 v29, v34, v172
	v_mul_lo_u32 v183, v34, v178
	v_or_b32_e32 v175, 0x60, v162
	global_load_b128 v[17:20], v9, s[10:11] offset:256
	v_and_b32_e32 v10, 0x7c, v32
	v_or_b32_e32 v173, 64, v161
	v_or_b32_e32 v174, 32, v161
	v_lshrrev_b32_e32 v100, 5, v28
	v_mul_lo_u32 v182, v34, v175
	v_lshrrev_b32_e32 v102, 5, v29
	v_lshrrev_b32_e32 v190, 5, v183
	v_mul_lo_u32 v30, v34, v173
	v_or_b32_e32 v180, 32, v162
	v_lshrrev_b32_e32 v185, 5, v181
	v_lshrrev_b32_e32 v186, 13, v181
	;; [unrolled: 1-line block ×3, first 2 shown]
	s_wait_loadcnt 0x0
	v_mul_f32_e32 v205, v92, v18
	v_lshlrev_b32_e32 v21, 3, v10
	v_and_b32_e32 v26, 31, v160
	s_wait_dscnt 0x2
	v_mul_f32_e32 v18, v96, v18
	s_clause 0x2
	global_load_b128 v[13:16], v9, s[10:11] offset:240
	global_load_b128 v[9:12], v21, s[10:11] offset:240
	;; [unrolled: 1-line block ×3, first 2 shown]
	v_fmac_f32_e32 v205, v96, v17
	v_mul_lo_u32 v27, v34, v26
	v_and_b32_e32 v99, 0xff, v28
	v_and_b32_e32 v184, 0xff, v181
	;; [unrolled: 1-line block ×4, first 2 shown]
	v_lshrrev_b32_e32 v29, 13, v29
	v_fma_f32 v17, v92, v17, -v18
	v_lshrrev_b32_e32 v28, 13, v28
	v_and_b32_e32 v25, 0xff, v27
	v_lshrrev_b32_e32 v32, 5, v27
	v_lshrrev_b32_e32 v27, 13, v27
	v_and_b32_e32 v29, 0x7f8, v29
	s_wait_loadcnt 0x2
	s_delay_alu instid0(VALU_DEP_2) | instskip(SKIP_3) | instid1(VALU_DEP_2)
	v_dual_mul_f32 v206, v94, v14 :: v_dual_and_b32 v27, 0x7f8, v27
	s_wait_loadcnt 0x0
	v_dual_mul_f32 v207, v77, v16 :: v_dual_mul_f32 v92, v91, v22
	v_dual_mul_f32 v208, v93, v10 :: v_dual_lshlrev_b32 v25, 3, v25
	v_dual_fmac_f32 v207, v87, v15 :: v_dual_and_b32 v32, 0x7f8, v32
	v_dual_fmac_f32 v206, v98, v13 :: v_dual_and_b32 v189, 0xff, v183
	v_mul_f32_e32 v16, v87, v16
	v_dual_mul_f32 v14, v98, v14 :: v_dual_lshlrev_b32 v99, 3, v99
	v_mul_f32_e32 v10, v97, v10
	v_and_b32_e32 v100, 0x7f8, v100
	s_clause 0x1
	global_load_b64 v[103:104], v25, s[0:1]
	global_load_b64 v[109:110], v32, s[0:1] offset:2048
	v_dual_fmac_f32 v208, v97, v9 :: v_dual_lshlrev_b32 v193, 3, v184
	v_fma_f32 v15, v77, v15, -v16
	v_fma_f32 v77, v93, v9, -v10
	v_sub_f32_e32 v9, v206, v207
	s_clause 0x1
	global_load_b64 v[105:106], v99, s[0:1]
	global_load_b64 v[111:112], v100, s[0:1] offset:2048
	v_dual_mul_f32 v96, v76, v24 :: v_dual_lshlrev_b32 v195, 3, v187
	v_fma_f32 v13, v94, v13, -v14
	v_mul_f32_e32 v14, v86, v24
	v_lshrrev_b32_e32 v183, 13, v183
	s_delay_alu instid0(VALU_DEP_4) | instskip(SKIP_1) | instid1(VALU_DEP_4)
	v_dual_fmac_f32 v96, v86, v23 :: v_dual_lshlrev_b32 v197, 3, v189
	v_mul_f32_e32 v18, v95, v22
	v_fma_f32 v86, v76, v23, -v14
	v_lshlrev_b32_e32 v32, 3, v101
	v_and_b32_e32 v99, 0x7f8, v102
	v_dual_fmac_f32 v92, v95, v21 :: v_dual_and_b32 v199, 0x7f8, v183
	v_fma_f32 v87, v91, v21, -v18
	v_sub_f32_e32 v21, v77, v86
	s_clause 0x1
	global_load_b64 v[107:108], v32, s[0:1]
	global_load_b64 v[113:114], v99, s[0:1] offset:2048
	v_and_b32_e32 v25, 0xff, v30
	v_lshrrev_b32_e32 v100, 5, v30
	v_or_b32_e32 v99, 0x60, v26
	v_sub_f32_e32 v14, v96, v92
	s_wait_dscnt 0x1
	v_dual_add_f32 v10, v169, v206 :: v_dual_lshlrev_b32 v25, 3, v25
	v_and_b32_e32 v32, 0x7f8, v100
	s_clause 0x1
	global_load_b64 v[115:116], v25, s[0:1]
	global_load_b64 v[117:118], v32, s[0:1] offset:2048
	v_or_b32_e32 v32, 0x80, v26
	v_mul_lo_u32 v25, v34, v174
	v_or_b32_e32 v100, 64, v26
	v_or_b32_e32 v26, 32, v26
	v_mul_lo_u32 v143, v34, v99
	v_mul_lo_u32 v32, v34, v32
	v_sub_f32_e32 v23, v208, v96
	v_mul_lo_u32 v144, v34, v100
	v_mul_lo_u32 v26, v34, v26
	v_and_b32_e32 v99, 0xff, v25
	v_lshrrev_b32_e32 v101, 5, v25
	v_dual_add_f32 v24, v208, v96 :: v_dual_and_b32 v121, 0xff, v143
	v_and_b32_e32 v119, 0xff, v32
	v_lshrrev_b32_e32 v120, 5, v32
	v_lshlrev_b32_e32 v99, 3, v99
	v_lshrrev_b32_e32 v122, 5, v143
	v_and_b32_e32 v101, 0x7f8, v101
	v_and_b32_e32 v123, 0xff, v144
	v_lshrrev_b32_e32 v124, 5, v144
	v_and_b32_e32 v125, 0xff, v26
	v_lshrrev_b32_e32 v126, 5, v26
	v_lshlrev_b32_e32 v119, 3, v119
	v_and_b32_e32 v120, 0x7f8, v120
	v_lshlrev_b32_e32 v121, 3, v121
	s_clause 0x1
	global_load_b64 v[99:100], v99, s[0:1]
	global_load_b64 v[101:102], v101, s[0:1] offset:2048
	v_and_b32_e32 v122, 0x7f8, v122
	v_lshlrev_b32_e32 v131, 3, v123
	v_and_b32_e32 v132, 0x7f8, v124
	v_lshlrev_b32_e32 v133, 3, v125
	v_and_b32_e32 v134, 0x7f8, v126
	v_lshrrev_b32_e32 v30, 13, v30
	v_dual_add_f32 v95, v77, v86 :: v_dual_and_b32 v28, 0x7f8, v28
	v_lshrrev_b32_e32 v26, 13, v26
	v_lshrrev_b32_e32 v25, 13, v25
	v_and_b32_e32 v184, 0x7f8, v185
	v_and_b32_e32 v194, 0x7f8, v186
	;; [unrolled: 1-line block ×4, first 2 shown]
	s_wait_loadcnt 0x8
	v_mul_f32_e32 v91, v104, v110
	v_mul_f32_e32 v93, v103, v110
	v_and_b32_e32 v30, 0x7f8, v30
	s_delay_alu instid0(VALU_DEP_3) | instskip(NEXT) | instid1(VALU_DEP_3)
	v_fma_f32 v91, v103, v109, -v91
	v_fmac_f32_e32 v93, v104, v109
	s_wait_loadcnt 0x6
	v_mul_f32_e32 v97, v106, v112
	s_clause 0xb
	global_load_b64 v[127:128], v119, s[0:1]
	global_load_b64 v[129:130], v120, s[0:1] offset:2048
	global_load_b64 v[123:124], v121, s[0:1]
	global_load_b64 v[125:126], v122, s[0:1] offset:2048
	;; [unrolled: 2-line block ×4, first 2 shown]
	global_load_b64 v[135:136], v27, s[0:1] offset:4096
	global_load_b64 v[137:138], v29, s[0:1] offset:4096
	;; [unrolled: 1-line block ×4, first 2 shown]
	v_lshrrev_b32_e32 v27, 13, v143
	v_lshrrev_b32_e32 v28, 13, v32
	;; [unrolled: 1-line block ×3, first 2 shown]
	v_mul_f32_e32 v98, v105, v112
	v_sub_f32_e32 v103, v92, v96
	v_and_b32_e32 v27, 0x7f8, v27
	v_and_b32_e32 v28, 0x7f8, v28
	;; [unrolled: 1-line block ×3, first 2 shown]
	v_or_b32_e32 v30, 0x80, v162
	v_fma_f32 v97, v105, v111, -v97
	v_dual_fmac_f32 v98, v106, v111 :: v_dual_and_b32 v25, 0x7f8, v25
	s_wait_loadcnt 0x10
	v_mul_f32_e32 v109, v108, v114
	s_clause 0x3
	global_load_b64 v[143:144], v27, s[0:1] offset:4096
	global_load_b64 v[149:150], v28, s[0:1] offset:4096
	;; [unrolled: 1-line block ×4, first 2 shown]
	v_mul_lo_u32 v26, v34, v161
	v_mul_lo_u32 v179, v34, v30
	v_mul_f32_e32 v105, v107, v114
	v_fma_f32 v107, v107, v113, -v109
	v_sub_f32_e32 v109, v15, v17
	v_add_f32_e32 v112, v207, v205
	v_mul_lo_u32 v34, v34, v180
	v_fmac_f32_e32 v105, v108, v113
	v_lshrrev_b32_e32 v27, 5, v26
	v_and_b32_e32 v28, 0xff, v26
	v_and_b32_e32 v176, 0xff, v179
	v_lshrrev_b32_e32 v26, 13, v26
	s_wait_loadcnt 0x12
	v_mul_f32_e32 v111, v116, v118
	v_and_b32_e32 v27, 0x7f8, v27
	v_lshlrev_b32_e32 v28, 3, v28
	s_clause 0x2
	global_load_b64 v[151:152], v27, s[0:1] offset:2048
	global_load_b64 v[155:156], v25, s[0:1] offset:4096
	global_load_b64 v[157:158], v28, s[0:1]
	v_and_b32_e32 v25, 0x7f8, v26
	v_and_b32_e32 v26, 60, v31
	v_lshrrev_b32_e32 v177, 5, v179
	v_lshlrev_b32_e32 v176, 3, v176
	v_lshrrev_b32_e32 v180, 13, v182
	global_load_b64 v[153:154], v25, s[0:1] offset:4096
	v_lshlrev_b32_e32 v29, 3, v26
	v_dual_sub_f32 v106, v87, v86 :: v_dual_and_b32 v177, 0x7f8, v177
	v_lshrrev_b32_e32 v179, 13, v179
	v_and_b32_e32 v180, 0x7f8, v180
	s_clause 0x1
	global_load_b128 v[25:28], v29, s[10:11] offset:240
	global_load_b128 v[29:32], v29, s[10:11] offset:256
	s_clause 0x1
	global_load_b64 v[175:176], v176, s[0:1]
	global_load_b64 v[177:178], v177, s[0:1] offset:2048
	v_dual_mul_f32 v108, v115, v118 :: v_dual_and_b32 v181, 0x7f8, v179
	s_clause 0x1
	global_load_b64 v[179:180], v180, s[0:1] offset:4096
	global_load_b64 v[181:182], v181, s[0:1] offset:4096
	v_dual_fmac_f32 v108, v116, v117 :: v_dual_and_b32 v191, 0xff, v34
	v_lshrrev_b32_e32 v192, 5, v34
	v_lshrrev_b32_e32 v34, 13, v34
	v_and_b32_e32 v196, 0x7f8, v188
	s_delay_alu instid0(VALU_DEP_4)
	v_lshlrev_b32_e32 v201, 3, v191
	v_fma_f32 v111, v115, v117, -v111
	v_and_b32_e32 v200, 0x7f8, v192
	v_dual_sub_f32 v117, v207, v205 :: v_dual_and_b32 v34, 0x7f8, v34
	s_clause 0xa
	global_load_b64 v[183:184], v184, s[0:1] offset:2048
	global_load_b64 v[185:186], v193, s[0:1]
	global_load_b64 v[187:188], v194, s[0:1] offset:4096
	global_load_b64 v[189:190], v195, s[0:1]
	global_load_b64 v[191:192], v196, s[0:1] offset:2048
	global_load_b64 v[193:194], v198, s[0:1] offset:2048
	global_load_b64 v[195:196], v197, s[0:1]
	global_load_b64 v[197:198], v199, s[0:1] offset:4096
	;; [unrolled: 3-line block ×3, first 2 shown]
	v_mul_f32_e32 v34, v168, v20
	s_wait_dscnt 0x0
	v_mul_f32_e32 v20, v170, v20
	v_add_f32_e32 v10, v10, v207
	v_cmp_lt_u32_e64 s0, 0x27f, v0
	v_fmac_f32_e32 v34, v170, v19
	s_delay_alu instid0(VALU_DEP_4)
	v_fma_f32 v19, v168, v19, -v20
	v_mul_f32_e32 v168, v80, v12
	v_mul_f32_e32 v12, v90, v12
	v_sub_f32_e32 v20, v86, v87
	v_sub_f32_e32 v110, v34, v205
	;; [unrolled: 1-line block ×3, first 2 shown]
	v_fmac_f32_e32 v168, v90, v11
	v_fma_f32 v80, v80, v11, -v12
	v_add_f32_e32 v11, v84, v13
	v_sub_f32_e32 v115, v19, v17
	s_delay_alu instid0(VALU_DEP_4)
	v_dual_sub_f32 v113, v13, v19 :: v_dual_sub_f32 v12, v208, v168
	v_add_f32_e32 v16, v168, v92
	v_sub_f32_e32 v18, v77, v80
	v_add_f32_e32 v22, v80, v87
	v_sub_f32_e32 v94, v168, v208
	v_sub_f32_e32 v104, v80, v77
	;; [unrolled: 1-line block ×3, first 2 shown]
	v_add_f32_e32 v118, v12, v14
	v_sub_f32_e32 v12, v207, v206
	v_add_f32_e32 v170, v18, v20
	v_add_f32_e32 v18, v206, v34
	v_add_f32_e32 v20, v15, v17
	v_add_f32_e32 v11, v11, v15
	v_sub_f32_e32 v206, v15, v13
	v_fma_f32 v207, -0.5, v22, v83
	v_sub_f32_e32 v14, v205, v34
	v_sub_f32_e32 v114, v13, v15
	v_add_f32_e32 v15, v94, v103
	v_add_f32_e32 v103, v104, v106
	s_wait_loadcnt 0x25
	v_mul_f32_e32 v104, v100, v102
	v_add_f32_e32 v106, v9, v110
	v_mul_f32_e32 v102, v99, v102
	v_fma_f32 v110, -0.5, v16, v167
	v_dual_add_f32 v11, v11, v17 :: v_dual_sub_f32 v94, v17, v19
	s_delay_alu instid0(VALU_DEP_3) | instskip(SKIP_1) | instid1(VALU_DEP_3)
	v_dual_add_f32 v13, v13, v19 :: v_dual_fmac_f32 v102, v100, v101
	v_fma_f32 v22, -0.5, v24, v167
	v_add_f32_e32 v11, v11, v19
	v_fma_f32 v24, -0.5, v95, v83
	v_fma_f32 v95, -0.5, v112, v169
	v_add_f32_e32 v114, v114, v115
	v_fma_f32 v115, -0.5, v18, v169
	v_dual_fmamk_f32 v17, v21, 0x3f737871, v110 :: v_dual_sub_f32 v90, v168, v92
	v_fma_f32 v99, v99, v101, -v104
	v_fmamk_f32 v101, v23, 0xbf737871, v207
	v_add_f32_e32 v169, v12, v14
	s_delay_alu instid0(VALU_DEP_4)
	v_fmac_f32_e32 v17, 0x3f167918, v76
	v_fmac_f32_e32 v110, 0xbf737871, v21
	;; [unrolled: 1-line block ×4, first 2 shown]
	v_add_f32_e32 v77, v83, v77
	v_fmac_f32_e32 v17, 0x3e9e377a, v118
	v_fmac_f32_e32 v110, 0xbf167918, v76
	;; [unrolled: 1-line block ×3, first 2 shown]
	s_delay_alu instid0(VALU_DEP_4) | instskip(NEXT) | instid1(VALU_DEP_1)
	v_add_f32_e32 v77, v77, v80
	v_add_f32_e32 v77, v77, v87
	s_delay_alu instid0(VALU_DEP_1)
	v_add_f32_e32 v77, v77, v86
	s_wait_loadcnt 0x23
	v_mul_f32_e32 v9, v128, v130
	v_mul_f32_e32 v12, v127, v130
	v_fmac_f32_e32 v101, 0x3e9e377a, v170
	v_fmac_f32_e32 v207, 0x3e9e377a, v170
	s_wait_loadcnt 0x1f
	v_mul_f32_e32 v16, v120, v122
	v_mul_f32_e32 v18, v119, v122
	v_fma_f32 v9, v127, v129, -v9
	s_wait_loadcnt 0x1a
	v_dual_mul_f32 v127, v97, v140 :: v_dual_fmac_f32 v12, v128, v129
	v_fma_f32 v16, v119, v121, -v16
	v_dual_mul_f32 v100, v131, v134 :: v_dual_mul_f32 v119, v93, v136
	v_fma_f32 v112, -0.5, v20, v84
	v_fma_f32 v84, -0.5, v13, v84
	v_mul_f32_e32 v13, v124, v126
	s_delay_alu instid0(VALU_DEP_4)
	v_fmac_f32_e32 v100, v132, v133
	v_mul_f32_e32 v20, v132, v134
	v_add_f32_e32 v10, v10, v205
	v_fmac_f32_e32 v18, v120, v121
	v_fma_f32 v13, v123, v125, -v13
	v_fmac_f32_e32 v127, v139, v98
	v_fma_f32 v20, v131, v133, -v20
	s_wait_loadcnt 0x19
	v_mul_f32_e32 v131, v111, v142
	v_mul_f32_e32 v14, v123, v126
	;; [unrolled: 1-line block ×5, first 2 shown]
	s_delay_alu instid0(VALU_DEP_4)
	v_dual_fmac_f32 v131, v141, v108 :: v_dual_fmac_f32 v14, v124, v125
	v_fmamk_f32 v125, v117, 0x3f737871, v84
	v_mul_f32_e32 v128, v105, v138
	v_fmac_f32_e32 v120, v135, v93
	v_fmamk_f32 v123, v116, 0xbf737871, v112
	v_fma_f32 v19, v135, v91, -v119
	v_dual_fmac_f32 v125, 0xbf167918, v116 :: v_dual_mul_f32 v130, v108, v142
	v_fma_f32 v93, v137, v107, -v128
	s_wait_loadcnt 0x18
	v_dual_mul_f32 v107, v13, v144 :: v_dual_fmamk_f32 v104, v76, 0xbf737871, v22
	v_fmac_f32_e32 v22, 0x3f737871, v76
	v_fma_f32 v91, v139, v97, -v121
	s_wait_loadcnt 0x15
	v_mul_f32_e32 v121, v20, v146
	v_fma_f32 v97, v141, v111, -v130
	v_mul_f32_e32 v111, v16, v148
	v_dual_fmac_f32 v107, v143, v14 :: v_dual_fmac_f32 v104, 0x3f167918, v21
	v_fmac_f32_e32 v22, 0xbf167918, v21
	v_fmac_f32_e32 v123, 0xbf167918, v117
	v_fmac_f32_e32 v129, v137, v105
	s_delay_alu instid0(VALU_DEP_4)
	v_dual_fmac_f32 v111, v147, v18 :: v_dual_fmac_f32 v104, 0x3e9e377a, v15
	v_fmamk_f32 v126, v113, 0x3f737871, v95
	v_add_f32_e32 v34, v10, v34
	v_dual_mul_f32 v10, v12, v150 :: v_dual_fmac_f32 v95, 0xbf737871, v113
	v_mul_f32_e32 v98, v9, v150
	v_dual_fmac_f32 v22, 0x3e9e377a, v15 :: v_dual_fmac_f32 v123, 0x3e9e377a, v114
	v_dual_fmamk_f32 v122, v90, 0x3f737871, v24 :: v_dual_mul_f32 v119, v100, v146
	v_mul_f32_e32 v15, v104, v129
	v_fmac_f32_e32 v126, 0x3f167918, v109
	v_dual_fmac_f32 v95, 0xbf167918, v109 :: v_dual_fmac_f32 v98, v149, v12
	v_dual_mul_f32 v105, v14, v144 :: v_dual_mul_f32 v12, v101, v127
	s_wait_loadcnt 0xf
	v_mul_f32_e32 v87, v78, v30
	v_fmac_f32_e32 v126, 0x3e9e377a, v106
	v_fmamk_f32 v124, v109, 0xbf737871, v115
	v_fmac_f32_e32 v115, 0x3f737871, v109
	v_fmac_f32_e32 v122, 0xbf167918, v23
	v_fmac_f32_e32 v95, 0x3e9e377a, v106
	v_fmac_f32_e32 v24, 0xbf737871, v90
	v_fma_f32 v105, v143, v13, -v105
	v_fmac_f32_e32 v115, 0xbf167918, v113
	v_fmac_f32_e32 v122, 0x3e9e377a, v103
	v_mul_f32_e32 v13, v17, v127
	v_fmac_f32_e32 v24, 0x3f167918, v23
	s_delay_alu instid0(VALU_DEP_4) | instskip(NEXT) | instid1(VALU_DEP_4)
	v_dual_mul_f32 v108, v18, v148 :: v_dual_fmac_f32 v115, 0x3e9e377a, v169
	v_mul_f32_e32 v14, v122, v129
	v_fmac_f32_e32 v84, 0xbf737871, v117
	s_delay_alu instid0(VALU_DEP_4)
	v_fmac_f32_e32 v24, 0x3e9e377a, v103
	v_fma_f32 v103, v149, v9, -v10
	v_mul_f32_e32 v9, v34, v120
	v_mul_f32_e32 v10, v11, v120
	v_fmac_f32_e32 v14, v104, v93
	v_mul_f32_e32 v86, v74, v26
	v_mul_f32_e32 v26, v82, v26
	v_fma_f32 v9, v11, v19, -v9
	v_fma_f32 v11, v101, v91, -v13
	;; [unrolled: 1-line block ×3, first 2 shown]
	v_dual_add_f32 v93, v167, v208 :: v_dual_mul_f32 v18, v22, v131
	v_fma_f32 v108, v147, v16, -v108
	v_mul_f32_e32 v16, v24, v131
	v_dual_fmac_f32 v10, v34, v19 :: v_dual_fmac_f32 v87, v88, v29
	s_delay_alu instid0(VALU_DEP_4)
	v_fma_f32 v15, v24, v97, -v18
	v_fmac_f32_e32 v84, 0x3f167918, v116
	v_fmac_f32_e32 v86, v82, v25
	v_fma_f32 v25, v74, v25, -v26
	v_add_f32_e32 v24, v206, v94
	v_mul_f32_e32 v76, v158, v152
	v_fmac_f32_e32 v16, v22, v97
	v_dual_fmac_f32 v12, v17, v91 :: v_dual_mul_f32 v17, v126, v98
	s_delay_alu instid0(VALU_DEP_4)
	v_fmac_f32_e32 v125, 0x3e9e377a, v24
	v_fmac_f32_e32 v84, 0x3e9e377a, v24
	v_mul_f32_e32 v24, v115, v111
	v_fma_f32 v76, v157, v151, -v76
	v_fmac_f32_e32 v121, v145, v100
	v_fma_f32 v119, v145, v20, -v119
	v_mul_f32_e32 v22, v84, v111
	v_fma_f32 v21, v84, v108, -v24
	v_mul_f32_e32 v84, v157, v152
	v_mul_f32_e32 v94, v76, v154
	v_cndmask_b32_e64 v97, 0, 0xa0, s0
	v_fma_f32 v17, v123, v103, -v17
	s_delay_alu instid0(VALU_DEP_4) | instskip(NEXT) | instid1(VALU_DEP_1)
	v_fmac_f32_e32 v84, v158, v151
	v_dual_mul_f32 v91, v84, v154 :: v_dual_fmac_f32 v94, v153, v84
	v_mul_f32_e32 v84, v79, v28
	v_mul_f32_e32 v28, v89, v28
	s_delay_alu instid0(VALU_DEP_3) | instskip(SKIP_1) | instid1(VALU_DEP_4)
	v_fma_f32 v83, v153, v76, -v91
	v_add_f32_e32 v91, v93, v168
	v_fmac_f32_e32 v84, v89, v27
	s_delay_alu instid0(VALU_DEP_4) | instskip(SKIP_4) | instid1(VALU_DEP_4)
	v_fma_f32 v89, v79, v27, -v28
	v_mul_f32_e32 v28, v88, v30
	v_mul_f32_e32 v30, v85, v32
	v_add_f32_e32 v80, v91, v92
	v_dual_mul_f32 v91, v75, v32 :: v_dual_fmac_f32 v124, 0x3f167918, v113
	v_fma_f32 v32, v78, v29, -v28
	v_add_f32_e32 v29, v84, v87
	v_fma_f32 v82, v75, v31, -v30
	s_delay_alu instid0(VALU_DEP_4) | instskip(SKIP_2) | instid1(VALU_DEP_3)
	v_dual_fmac_f32 v91, v85, v31 :: v_dual_mul_f32 v18, v123, v98
	s_wait_loadcnt 0xd
	v_dual_add_f32 v26, v89, v32 :: v_dual_mul_f32 v31, v176, v178
	v_dual_fmac_f32 v124, 0x3e9e377a, v169 :: v_dual_sub_f32 v75, v82, v32
	s_delay_alu instid0(VALU_DEP_3) | instskip(NEXT) | instid1(VALU_DEP_3)
	v_sub_f32_e32 v85, v86, v91
	v_fma_f32 v79, -0.5, v26, v73
	v_fma_f32 v74, -0.5, v29, v81
	v_fma_f32 v26, v175, v177, -v31
	v_mul_f32_e32 v29, v175, v178
	v_sub_f32_e32 v31, v25, v89
	v_fmamk_f32 v88, v85, 0xbf737871, v79
	v_sub_f32_e32 v92, v84, v87
	s_delay_alu instid0(VALU_DEP_4)
	v_dual_fmac_f32 v18, v126, v103 :: v_dual_fmac_f32 v29, v176, v177
	v_add_f32_e32 v80, v80, v96
	v_add_f32_e32 v96, v31, v75
	s_wait_loadcnt 0xb
	v_dual_fmac_f32 v88, 0xbf167918, v92 :: v_dual_mul_f32 v31, v26, v182
	v_fmac_f32_e32 v112, 0x3f737871, v116
	v_sub_f32_e32 v28, v86, v84
	v_sub_f32_e32 v30, v91, v87
	s_delay_alu instid0(VALU_DEP_4) | instskip(NEXT) | instid1(VALU_DEP_4)
	v_dual_fmac_f32 v88, 0x3e9e377a, v96 :: v_dual_fmac_f32 v31, v181, v29
	v_dual_fmac_f32 v112, 0x3f167918, v117 :: v_dual_mul_f32 v27, v77, v94
	s_delay_alu instid0(VALU_DEP_3) | instskip(SKIP_2) | instid1(VALU_DEP_4)
	v_add_f32_e32 v30, v28, v30
	v_mul_f32_e32 v28, v29, v182
	v_mul_f32_e32 v94, v80, v94
	v_dual_mul_f32 v29, v88, v31 :: v_dual_fmac_f32 v112, 0x3e9e377a, v114
	v_sub_f32_e32 v78, v25, v82
	s_delay_alu instid0(VALU_DEP_4) | instskip(NEXT) | instid1(VALU_DEP_4)
	v_fma_f32 v28, v181, v26, -v28
	v_fma_f32 v26, v77, v83, -v94
	s_delay_alu instid0(VALU_DEP_4) | instskip(SKIP_3) | instid1(VALU_DEP_4)
	v_dual_add_f32 v77, v86, v91 :: v_dual_mul_f32 v24, v112, v121
	v_mul_f32_e32 v20, v125, v107
	v_dual_mul_f32 v34, v95, v121 :: v_dual_sub_f32 v93, v89, v32
	v_sub_f32_e32 v98, v32, v82
	v_fmac_f32_e32 v24, v95, v119
	v_fmamk_f32 v95, v78, 0x3f737871, v74
	v_fma_f32 v77, -0.5, v77, v81
	v_dual_mul_f32 v90, v99, v156 :: v_dual_fmac_f32 v27, v80, v83
	s_delay_alu instid0(VALU_DEP_3) | instskip(NEXT) | instid1(VALU_DEP_3)
	v_dual_add_f32 v80, v25, v82 :: v_dual_fmac_f32 v95, 0x3f167918, v93
	v_fmamk_f32 v100, v93, 0xbf737871, v77
	s_delay_alu instid0(VALU_DEP_3) | instskip(SKIP_1) | instid1(VALU_DEP_4)
	v_dual_fmac_f32 v77, 0x3f737871, v93 :: v_dual_fmac_f32 v90, v155, v102
	v_sub_f32_e32 v83, v84, v86
	v_dual_fmac_f32 v95, 0x3e9e377a, v30 :: v_dual_fmac_f32 v20, v124, v105
	v_fma_f32 v23, v112, v119, -v34
	v_fma_f32 v94, -0.5, v80, v73
	v_mul_f32_e32 v34, v102, v156
	s_delay_alu instid0(VALU_DEP_4)
	v_fmac_f32_e32 v29, v95, v28
	v_mul_f32_e32 v31, v95, v31
	s_wait_loadcnt 0x6
	v_mul_f32_e32 v95, v189, v192
	v_fmac_f32_e32 v77, 0xbf167918, v78
	v_fma_f32 v34, v155, v99, -v34
	v_dual_fmamk_f32 v99, v92, 0x3f737871, v94 :: v_dual_mul_f32 v76, v207, v90
	v_fmac_f32_e32 v79, 0x3f737871, v85
	v_dual_fmac_f32 v95, v190, v191 :: v_dual_fmac_f32 v110, 0x3e9e377a, v118
	v_mul_f32_e32 v80, v190, v192
	v_fmac_f32_e32 v22, v115, v108
	v_fmac_f32_e32 v100, 0x3f167918, v78
	v_fma_f32 v28, v88, v28, -v31
	v_mul_f32_e32 v90, v110, v90
	v_fma_f32 v80, v189, v191, -v80
	s_wait_loadcnt 0x4
	v_mul_f32_e32 v88, v195, v194
	v_fmac_f32_e32 v94, 0xbf737871, v92
	v_fmac_f32_e32 v99, 0xbf167918, v85
	v_fma_f32 v75, v207, v34, -v90
	v_sub_f32_e32 v90, v87, v91
	v_fmac_f32_e32 v88, v196, v193
	v_fmac_f32_e32 v94, 0x3f167918, v85
	;; [unrolled: 1-line block ×4, first 2 shown]
	v_add_f32_e32 v83, v83, v90
	v_dual_mul_f32 v90, v95, v180 :: v_dual_add_f32 v73, v73, v25
	s_delay_alu instid0(VALU_DEP_4) | instskip(NEXT) | instid1(VALU_DEP_4)
	v_fmac_f32_e32 v74, 0xbf167918, v93
	v_fmac_f32_e32 v79, 0x3e9e377a, v96
	s_delay_alu instid0(VALU_DEP_4)
	v_dual_fmac_f32 v77, 0x3e9e377a, v83 :: v_dual_fmac_f32 v76, v110, v34
	v_or_b32_e32 v34, v162, v97
	v_dual_sub_f32 v97, v89, v25 :: v_dual_fmac_f32 v100, 0x3e9e377a, v83
	v_fma_f32 v90, v179, v80, -v90
	s_wait_loadcnt 0x1
	v_dual_mul_f32 v83, v202, v200 :: v_dual_fmac_f32 v74, 0x3e9e377a, v30
	s_delay_alu instid0(VALU_DEP_3) | instskip(SKIP_1) | instid1(VALU_DEP_3)
	v_dual_add_f32 v97, v97, v98 :: v_dual_mul_f32 v98, v80, v180
	v_mul_f32_e32 v80, v196, v194
	v_fma_f32 v83, v201, v199, -v83
	v_add_nc_u32_e32 v25, s6, v33
	s_delay_alu instid0(VALU_DEP_4) | instskip(NEXT) | instid1(VALU_DEP_4)
	v_dual_fmac_f32 v99, 0x3e9e377a, v97 :: v_dual_fmac_f32 v98, v179, v95
	v_fma_f32 v80, v195, v193, -v80
	v_dual_mul_f32 v95, v88, v198 :: v_dual_fmac_f32 v94, 0x3e9e377a, v97
	v_mul_f32_e32 v97, v201, v200
	s_wait_loadcnt 0x0
	v_mul_f32_e32 v85, v83, v204
	v_mul_f32_e32 v31, v99, v98
	v_fma_f32 v95, v197, v80, -v95
	v_dual_mul_f32 v80, v80, v198 :: v_dual_fmac_f32 v97, v202, v199
	v_mul_f32_e32 v98, v100, v98
	s_delay_alu instid0(VALU_DEP_4) | instskip(NEXT) | instid1(VALU_DEP_3)
	v_fmac_f32_e32 v31, v100, v90
	v_dual_mul_f32 v19, v124, v107 :: v_dual_fmac_f32 v80, v197, v88
	s_delay_alu instid0(VALU_DEP_4) | instskip(NEXT) | instid1(VALU_DEP_4)
	v_dual_mul_f32 v88, v97, v204 :: v_dual_fmac_f32 v85, v203, v97
	v_fma_f32 v30, v99, v90, -v98
	s_delay_alu instid0(VALU_DEP_3) | instskip(NEXT) | instid1(VALU_DEP_4)
	v_fma_f32 v19, v125, v105, -v19
	v_mul_f32_e32 v78, v94, v80
	v_mul_f32_e32 v92, v77, v80
	v_fma_f32 v83, v203, v83, -v88
	v_mul_f32_e32 v80, v79, v85
	s_delay_alu instid0(VALU_DEP_4) | instskip(NEXT) | instid1(VALU_DEP_4)
	v_dual_mul_f32 v85, v74, v85 :: v_dual_fmac_f32 v78, v77, v95
	v_fma_f32 v77, v94, v95, -v92
	s_delay_alu instid0(VALU_DEP_3) | instskip(SKIP_1) | instid1(VALU_DEP_4)
	v_fmac_f32_e32 v80, v74, v83
	v_dual_add_f32 v74, v81, v86 :: v_dual_mul_f32 v81, v186, v184
	v_fma_f32 v79, v79, v83, -v85
	v_add_f32_e32 v85, v73, v89
	s_delay_alu instid0(VALU_DEP_3) | instskip(SKIP_4) | instid1(VALU_DEP_4)
	v_add_f32_e32 v83, v74, v84
	v_mul_f32_e32 v84, v185, v184
	v_fma_f32 v86, v185, v183, -v81
	v_mad_co_u64_u32 v[73:74], null, s8, v34, v[25:26]
	v_add_f32_e32 v32, v85, v32
	v_fmac_f32_e32 v84, v183, v186
	s_delay_alu instid0(VALU_DEP_4) | instskip(SKIP_1) | instid1(VALU_DEP_4)
	v_mul_f32_e32 v85, v188, v86
	v_dual_add_f32 v81, v83, v87 :: v_dual_mov_b32 v74, 0
	v_add_f32_e32 v32, v32, v82
	s_delay_alu instid0(VALU_DEP_4) | instskip(NEXT) | instid1(VALU_DEP_3)
	v_mul_f32_e32 v83, v188, v84
	v_dual_fmac_f32 v85, v187, v84 :: v_dual_add_f32 v88, v81, v91
	s_delay_alu instid0(VALU_DEP_4) | instskip(SKIP_1) | instid1(VALU_DEP_4)
	v_lshlrev_b64_e32 v[81:82], 3, v[73:74]
	v_add_nc_u32_e32 v73, 32, v34
	v_fma_f32 v89, v187, v86, -v83
	s_delay_alu instid0(VALU_DEP_4) | instskip(SKIP_1) | instid1(VALU_DEP_4)
	v_mul_f32_e32 v83, v32, v85
	v_mul_f32_e32 v90, v88, v85
	v_mad_co_u64_u32 v[84:85], null, s8, v73, v[25:26]
	v_mov_b32_e32 v85, v74
	v_add_co_u32 v86, s0, s4, v81
	v_or_b32_e32 v73, 64, v34
	s_wait_alu 0xf1ff
	v_add_co_ci_u32_e64 v87, s0, s5, v82, s0
	v_lshlrev_b64_e32 v[84:85], 3, v[84:85]
	v_fma_f32 v82, v32, v89, -v90
	v_dual_fmac_f32 v83, v88, v89 :: v_dual_add_nc_u32 v32, 0x60, v34
	v_mad_co_u64_u32 v[88:89], null, s8, v73, v[25:26]
	s_delay_alu instid0(VALU_DEP_4) | instskip(NEXT) | instid1(VALU_DEP_3)
	v_add_co_u32 v84, s0, s4, v84
	v_mad_co_u64_u32 v[90:91], null, s8, v32, v[25:26]
	s_wait_alu 0xf1ff
	v_add_co_ci_u32_e64 v85, s0, s5, v85, s0
	v_dual_mov_b32 v89, v74 :: v_dual_add_nc_u32 v32, 0x80, v34
	v_mov_b32_e32 v91, v74
	s_clause 0x1
	global_store_b64 v[86:87], v[82:83], off
	global_store_b64 v[84:85], v[79:80], off
	v_mad_co_u64_u32 v[83:84], null, s8, v32, v[25:26]
	v_lshlrev_b64_e32 v[79:80], 3, v[88:89]
	v_mov_b32_e32 v84, v74
	v_mad_co_u64_u32 v[85:86], null, s8, v161, v[25:26]
	v_lshlrev_b64_e32 v[81:82], 3, v[90:91]
	v_mov_b32_e32 v86, v74
	v_add_co_u32 v79, s0, s4, v79
	v_lshlrev_b64_e32 v[83:84], 3, v[83:84]
	s_wait_alu 0xf1ff
	v_add_co_ci_u32_e64 v80, s0, s5, v80, s0
	v_add_co_u32 v81, s0, s4, v81
	v_lshlrev_b64_e32 v[85:86], 3, v[85:86]
	s_wait_alu 0xf1ff
	v_add_co_ci_u32_e64 v82, s0, s5, v82, s0
	v_mad_co_u64_u32 v[87:88], null, s8, v174, v[25:26]
	v_add_co_u32 v83, s0, s4, v83
	s_wait_alu 0xf1ff
	v_add_co_ci_u32_e64 v84, s0, s5, v84, s0
	v_mov_b32_e32 v88, v74
	v_add_co_u32 v85, s0, s4, v85
	s_wait_alu 0xf1ff
	v_add_co_ci_u32_e64 v86, s0, s5, v86, s0
	s_clause 0x3
	global_store_b64 v[79:80], v[77:78], off
	global_store_b64 v[81:82], v[30:31], off
	;; [unrolled: 1-line block ×4, first 2 shown]
	v_lshlrev_b64_e32 v[26:27], 3, v[87:88]
	v_and_or_b32 v32, 0x80, v164, v160
	s_delay_alu instid0(VALU_DEP_2)
	v_mad_co_u64_u32 v[28:29], null, s8, v173, v[25:26]
	v_mov_b32_e32 v29, v74
	v_mad_co_u64_u32 v[30:31], null, s8, v172, v[25:26]
	v_add_co_u32 v26, s0, s4, v26
	s_wait_alu 0xf1ff
	v_add_co_ci_u32_e64 v27, s0, s5, v27, s0
	v_mov_b32_e32 v31, v74
	v_lshlrev_b64_e32 v[28:29], 3, v[28:29]
	v_mad_co_u64_u32 v[77:78], null, s8, v171, v[25:26]
	global_store_b64 v[26:27], v[75:76], off
	v_lshlrev_b64_e32 v[26:27], 3, v[30:31]
	v_mov_b32_e32 v78, v74
	v_add_co_u32 v28, s0, s4, v28
	s_wait_alu 0xf1ff
	v_add_co_ci_u32_e64 v29, s0, s5, v29, s0
	s_delay_alu instid0(VALU_DEP_4)
	v_add_co_u32 v26, s0, s4, v26
	s_wait_alu 0xf1ff
	v_add_co_ci_u32_e64 v27, s0, s5, v27, s0
	s_clause 0x1
	global_store_b64 v[28:29], v[15:16], off
	global_store_b64 v[26:27], v[13:14], off
	v_add_nc_u32_e32 v13, 32, v32
	v_or_b32_e32 v15, 64, v32
	v_lshlrev_b64_e32 v[30:31], 3, v[77:78]
	v_mad_co_u64_u32 v[75:76], null, s8, v32, v[25:26]
	s_delay_alu instid0(VALU_DEP_4) | instskip(NEXT) | instid1(VALU_DEP_4)
	v_mad_co_u64_u32 v[13:14], null, s8, v13, v[25:26]
	v_mad_co_u64_u32 v[15:16], null, s8, v15, v[25:26]
	v_add_nc_u32_e32 v26, 0x60, v32
	v_add_co_u32 v30, s0, s4, v30
	s_wait_alu 0xf1ff
	v_add_co_ci_u32_e64 v31, s0, s5, v31, s0
	v_mov_b32_e32 v76, v74
	v_mad_co_u64_u32 v[26:27], null, s8, v26, v[25:26]
	v_mov_b32_e32 v14, v74
	v_add_nc_u32_e32 v28, 0x80, v32
	global_store_b64 v[30:31], v[11:12], off
	v_lshlrev_b64_e32 v[11:12], 3, v[75:76]
	v_mov_b32_e32 v16, v74
	v_lshlrev_b64_e32 v[13:14], 3, v[13:14]
	v_mov_b32_e32 v27, v74
	v_mad_co_u64_u32 v[28:29], null, s8, v28, v[25:26]
	v_mov_b32_e32 v29, v74
	v_add_co_u32 v11, s0, s4, v11
	v_lshlrev_b64_e32 v[15:16], 3, v[15:16]
	s_wait_alu 0xf1ff
	v_add_co_ci_u32_e64 v12, s0, s5, v12, s0
	v_add_co_u32 v13, s0, s4, v13
	v_lshlrev_b64_e32 v[25:26], 3, v[26:27]
	s_wait_alu 0xf1ff
	v_add_co_ci_u32_e64 v14, s0, s5, v14, s0
	;; [unrolled: 4-line block ×3, first 2 shown]
	v_add_co_u32 v25, s0, s4, v25
	s_wait_alu 0xf1ff
	v_add_co_ci_u32_e64 v26, s0, s5, v26, s0
	v_add_co_u32 v27, s0, s4, v27
	s_wait_alu 0xf1ff
	v_add_co_ci_u32_e64 v28, s0, s5, v28, s0
	s_clause 0x4
	global_store_b64 v[11:12], v[9:10], off
	global_store_b64 v[13:14], v[23:24], off
	;; [unrolled: 1-line block ×5, first 2 shown]
.LBB0_40:
	s_wait_alu 0xfffe
	s_or_b32 exec_lo, exec_lo, s2
	v_cmp_gt_u32_e64 s1, 40, v0
	v_cmp_lt_u32_e64 s0, 39, v0
	v_cndmask_b32_e64 v9, 0, 1, vcc_lo
	s_wait_alu 0xf1ff
	s_delay_alu instid0(VALU_DEP_3) | instskip(NEXT) | instid1(VALU_DEP_3)
	v_cndmask_b32_e64 v0, 0, 1, s1
	s_or_b32 vcc_lo, s0, s3
	s_mov_b32 s0, exec_lo
	s_wait_alu 0xfffe
	s_delay_alu instid0(VALU_DEP_1) | instskip(NEXT) | instid1(VALU_DEP_1)
	v_cndmask_b32_e32 v0, v9, v0, vcc_lo
	v_and_b32_e32 v0, 1, v0
	s_delay_alu instid0(VALU_DEP_1)
	v_cmpx_eq_u32_e32 1, v0
	s_cbranch_execz .LBB0_42
; %bb.41:
	s_wait_loadcnt_dscnt 0xf00
	v_dual_mul_f32 v0, v72, v8 :: v_dual_mul_f32 v9, v69, v2
	v_dual_mul_f32 v10, v71, v6 :: v_dual_mul_f32 v11, v36, v4
	v_and_or_b32 v19, 0x80, v163, v159
	s_delay_alu instid0(VALU_DEP_3) | instskip(NEXT) | instid1(VALU_DEP_4)
	v_fma_f32 v0, v38, v7, -v0
	v_fma_f32 v9, v35, v1, -v9
	v_mul_f32_e32 v6, v37, v6
	v_fma_f32 v10, v37, v5, -v10
	v_mul_f32_e32 v8, v38, v8
	v_fmac_f32_e32 v11, v70, v3
	s_delay_alu instid0(VALU_DEP_4) | instskip(SKIP_1) | instid1(VALU_DEP_4)
	v_dual_fmac_f32 v6, v71, v5 :: v_dual_add_nc_u32 v21, 0x80, v19
	v_dual_add_f32 v5, v0, v9 :: v_dual_mul_f32 v2, v35, v2
	v_dual_fmac_f32 v8, v72, v7 :: v_dual_add_f32 v7, v165, v10
	s_delay_alu instid0(VALU_DEP_3) | instskip(NEXT) | instid1(VALU_DEP_3)
	v_add_f32_e32 v17, v166, v6
	v_fma_f32 v13, -0.5, v5, v165
	s_delay_alu instid0(VALU_DEP_4) | instskip(SKIP_1) | instid1(VALU_DEP_1)
	v_dual_sub_f32 v5, v6, v11 :: v_dual_fmac_f32 v2, v69, v1
	v_mul_f32_e32 v4, v70, v4
	v_fma_f32 v1, v36, v3, -v4
	s_delay_alu instid0(VALU_DEP_3) | instskip(SKIP_1) | instid1(VALU_DEP_3)
	v_dual_fmamk_f32 v4, v5, 0x3f737871, v13 :: v_dual_add_f32 v3, v7, v0
	v_dual_sub_f32 v12, v10, v0 :: v_dual_fmac_f32 v13, 0xbf737871, v5
	v_add_f32_e32 v15, v10, v1
	v_sub_f32_e32 v14, v1, v9
	s_delay_alu instid0(VALU_DEP_4) | instskip(NEXT) | instid1(VALU_DEP_3)
	v_add_f32_e32 v3, v3, v9
	v_fmac_f32_e32 v165, -0.5, v15
	v_sub_f32_e32 v15, v0, v10
	v_sub_f32_e32 v7, v8, v2
	s_delay_alu instid0(VALU_DEP_4) | instskip(SKIP_1) | instid1(VALU_DEP_3)
	v_dual_add_f32 v12, v12, v14 :: v_dual_add_f32 v3, v3, v1
	v_sub_f32_e32 v16, v9, v1
	v_dual_sub_f32 v0, v0, v9 :: v_dual_fmac_f32 v13, 0xbf167918, v7
	v_fmac_f32_e32 v4, 0x3f167918, v7
	v_fmamk_f32 v14, v7, 0xbf737871, v165
	s_delay_alu instid0(VALU_DEP_4) | instskip(SKIP_1) | instid1(VALU_DEP_4)
	v_dual_add_f32 v18, v8, v2 :: v_dual_add_f32 v15, v15, v16
	v_fmac_f32_e32 v165, 0x3f737871, v7
	v_fmac_f32_e32 v4, 0x3e9e377a, v12
	s_delay_alu instid0(VALU_DEP_4) | instskip(NEXT) | instid1(VALU_DEP_4)
	v_dual_add_f32 v7, v17, v8 :: v_dual_fmac_f32 v14, 0x3f167918, v5
	v_fma_f32 v16, -0.5, v18, v166
	v_fmac_f32_e32 v13, 0x3e9e377a, v12
	v_dual_fmac_f32 v165, 0xbf167918, v5 :: v_dual_sub_f32 v12, v11, v2
	s_delay_alu instid0(VALU_DEP_4) | instskip(SKIP_3) | instid1(VALU_DEP_4)
	v_add_f32_e32 v5, v7, v2
	v_dual_sub_f32 v1, v10, v1 :: v_dual_fmac_f32 v14, 0x3e9e377a, v15
	v_add_f32_e32 v10, v6, v11
	v_sub_f32_e32 v9, v6, v8
	v_add_f32_e32 v5, v5, v11
	s_delay_alu instid0(VALU_DEP_4) | instskip(NEXT) | instid1(VALU_DEP_4)
	v_dual_fmamk_f32 v7, v1, 0xbf737871, v16 :: v_dual_sub_f32 v6, v8, v6
	v_fmac_f32_e32 v166, -0.5, v10
	s_delay_alu instid0(VALU_DEP_4) | instskip(NEXT) | instid1(VALU_DEP_3)
	v_dual_fmac_f32 v16, 0x3f737871, v1 :: v_dual_add_f32 v9, v9, v12
	v_dual_fmac_f32 v7, 0xbf167918, v0 :: v_dual_sub_f32 v2, v2, v11
	s_delay_alu instid0(VALU_DEP_3) | instskip(NEXT) | instid1(VALU_DEP_3)
	v_fmamk_f32 v10, v0, 0x3f737871, v166
	v_fmac_f32_e32 v16, 0x3f167918, v0
	v_fmac_f32_e32 v166, 0xbf737871, v0
	s_wait_loadcnt 0xd
	v_dual_fmac_f32 v165, 0x3e9e377a, v15 :: v_dual_mul_f32 v8, v64, v68
	v_dual_fmac_f32 v7, 0x3e9e377a, v9 :: v_dual_add_f32 v2, v6, v2
	v_fmac_f32_e32 v10, 0xbf167918, v1
	s_wait_loadcnt 0xa
	v_dual_fmac_f32 v166, 0x3f167918, v1 :: v_dual_mul_f32 v1, v62, v66
	v_dual_fmac_f32 v16, 0x3e9e377a, v9 :: v_dual_mul_f32 v9, v61, v66
	v_mul_f32_e32 v6, v63, v68
	v_fma_f32 v0, v63, v67, -v8
	s_wait_loadcnt 0x7
	v_dual_fmac_f32 v10, 0x3e9e377a, v2 :: v_dual_mul_f32 v17, v51, v60
	s_delay_alu instid0(VALU_DEP_3) | instskip(NEXT) | instid1(VALU_DEP_3)
	v_dual_fmac_f32 v9, v62, v65 :: v_dual_fmac_f32 v6, v64, v67
	v_mul_f32_e32 v8, v0, v56
	s_delay_alu instid0(VALU_DEP_3) | instskip(NEXT) | instid1(VALU_DEP_3)
	v_dual_fmac_f32 v166, 0x3e9e377a, v2 :: v_dual_fmac_f32 v17, v52, v59
	v_mul_f32_e32 v15, v9, v58
	s_delay_alu instid0(VALU_DEP_4) | instskip(SKIP_2) | instid1(VALU_DEP_3)
	v_mul_f32_e32 v11, v6, v56
	v_fma_f32 v2, v61, v65, -v1
	v_fmac_f32_e32 v8, v55, v6
	v_fma_f32 v6, v55, v0, -v11
	s_delay_alu instid0(VALU_DEP_3) | instskip(NEXT) | instid1(VALU_DEP_1)
	v_dual_mul_f32 v0, v52, v60 :: v_dual_mul_f32 v11, v2, v58
	v_fma_f32 v18, v51, v59, -v0
	s_delay_alu instid0(VALU_DEP_2) | instskip(SKIP_1) | instid1(VALU_DEP_2)
	v_fmac_f32_e32 v11, v57, v9
	s_wait_loadcnt 0x6
	v_mul_f32_e32 v9, v18, v54
	s_delay_alu instid0(VALU_DEP_1) | instskip(SKIP_4) | instid1(VALU_DEP_4)
	v_fmac_f32_e32 v9, v53, v17
	v_mul_f32_e32 v12, v5, v8
	v_mul_f32_e32 v1, v3, v8
	v_fma_f32 v8, v57, v2, -v15
	v_mul_f32_e32 v2, v7, v11
	v_fma_f32 v0, v3, v6, -v12
	s_delay_alu instid0(VALU_DEP_4)
	v_fmac_f32_e32 v1, v5, v6
	v_mul_f32_e32 v5, v17, v54
	v_mul_f32_e32 v3, v4, v11
	s_wait_loadcnt 0x4
	v_mul_f32_e32 v6, v48, v50
	v_fma_f32 v2, v4, v8, -v2
	v_mul_f32_e32 v4, v10, v9
	v_fma_f32 v11, v53, v18, -v5
	v_fmac_f32_e32 v3, v7, v8
	v_mul_f32_e32 v12, v47, v50
	v_fma_f32 v6, v47, v49, -v6
	s_wait_loadcnt 0x1
	v_mul_f32_e32 v5, v44, v46
	v_fma_f32 v4, v14, v11, -v4
	s_delay_alu instid0(VALU_DEP_3) | instskip(NEXT) | instid1(VALU_DEP_3)
	v_mul_f32_e32 v7, v6, v42
	v_fma_f32 v15, v43, v45, -v5
	v_mul_f32_e32 v5, v14, v9
	v_fmac_f32_e32 v12, v48, v49
	s_delay_alu instid0(VALU_DEP_2) | instskip(NEXT) | instid1(VALU_DEP_2)
	v_dual_mul_f32 v8, v43, v46 :: v_dual_fmac_f32 v5, v10, v11
	v_fmac_f32_e32 v7, v41, v12
	v_mul_f32_e32 v9, v12, v42
	s_delay_alu instid0(VALU_DEP_3)
	v_fmac_f32_e32 v8, v44, v45
	s_wait_loadcnt 0x0
	v_mul_f32_e32 v12, v15, v40
	v_mul_f32_e32 v14, v166, v7
	v_fma_f32 v11, v41, v6, -v9
	v_dual_mul_f32 v9, v8, v40 :: v_dual_add_nc_u32 v6, s6, v33
	s_delay_alu instid0(VALU_DEP_4) | instskip(SKIP_1) | instid1(VALU_DEP_3)
	v_fmac_f32_e32 v12, v39, v8
	v_mul_f32_e32 v8, v165, v7
	v_fma_f32 v15, v39, v15, -v9
	s_delay_alu instid0(VALU_DEP_4) | instskip(NEXT) | instid1(VALU_DEP_4)
	v_mad_co_u64_u32 v[9:10], null, s8, v19, v[6:7]
	v_dual_mul_f32 v17, v16, v12 :: v_dual_mov_b32 v10, 0
	v_fma_f32 v7, v165, v11, -v14
	v_fmac_f32_e32 v8, v166, v11
	s_delay_alu instid0(VALU_DEP_3) | instskip(SKIP_4) | instid1(VALU_DEP_4)
	v_fma_f32 v11, v13, v15, -v17
	v_dual_mul_f32 v12, v13, v12 :: v_dual_add_nc_u32 v17, 32, v19
	v_lshlrev_b64_e32 v[13:14], 3, v[9:10]
	v_or_b32_e32 v9, 64, v19
	v_mad_co_u64_u32 v[21:22], null, s8, v21, v[6:7]
	v_fmac_f32_e32 v12, v16, v15
	v_mad_co_u64_u32 v[15:16], null, s8, v17, v[6:7]
	v_mov_b32_e32 v16, v10
	v_mad_co_u64_u32 v[17:18], null, s8, v9, v[6:7]
	v_dual_mov_b32 v18, v10 :: v_dual_add_nc_u32 v9, 0x60, v19
	v_add_co_u32 v13, vcc_lo, s4, v13
	s_delay_alu instid0(VALU_DEP_4) | instskip(NEXT) | instid1(VALU_DEP_3)
	v_lshlrev_b64_e32 v[15:16], 3, v[15:16]
	v_mad_co_u64_u32 v[19:20], null, s8, v9, v[6:7]
	s_delay_alu instid0(VALU_DEP_4)
	v_lshlrev_b64_e32 v[17:18], 3, v[17:18]
	v_mov_b32_e32 v20, v10
	s_wait_alu 0xfffd
	v_add_co_ci_u32_e32 v14, vcc_lo, s5, v14, vcc_lo
	v_add_co_u32 v15, vcc_lo, s4, v15
	v_mov_b32_e32 v22, v10
	s_wait_alu 0xfffd
	v_add_co_ci_u32_e32 v16, vcc_lo, s5, v16, vcc_lo
	v_lshlrev_b64_e32 v[19:20], 3, v[19:20]
	v_add_co_u32 v9, vcc_lo, s4, v17
	s_wait_alu 0xfffd
	v_add_co_ci_u32_e32 v10, vcc_lo, s5, v18, vcc_lo
	v_lshlrev_b64_e32 v[17:18], 3, v[21:22]
	s_delay_alu instid0(VALU_DEP_4) | instskip(SKIP_2) | instid1(VALU_DEP_3)
	v_add_co_u32 v19, vcc_lo, s4, v19
	s_wait_alu 0xfffd
	v_add_co_ci_u32_e32 v20, vcc_lo, s5, v20, vcc_lo
	v_add_co_u32 v17, vcc_lo, s4, v17
	s_wait_alu 0xfffd
	v_add_co_ci_u32_e32 v18, vcc_lo, s5, v18, vcc_lo
	s_clause 0x4
	global_store_b64 v[13:14], v[0:1], off
	global_store_b64 v[15:16], v[2:3], off
	;; [unrolled: 1-line block ×5, first 2 shown]
.LBB0_42:
	s_nop 0
	s_sendmsg sendmsg(MSG_DEALLOC_VGPRS)
	s_endpgm
	.section	.rodata,"a",@progbits
	.p2align	6, 0x0
	.amdhsa_kernel fft_rtc_fwd_len160_factors_2_4_4_5_wgs_200_tpt_10_halfLds_dim2_sp_ip_CI_sbcc_twdbase8_3step_dirReg_intrinsicReadWrite
		.amdhsa_group_segment_fixed_size 0
		.amdhsa_private_segment_fixed_size 0
		.amdhsa_kernarg_size 88
		.amdhsa_user_sgpr_count 2
		.amdhsa_user_sgpr_dispatch_ptr 0
		.amdhsa_user_sgpr_queue_ptr 0
		.amdhsa_user_sgpr_kernarg_segment_ptr 1
		.amdhsa_user_sgpr_dispatch_id 0
		.amdhsa_user_sgpr_private_segment_size 0
		.amdhsa_wavefront_size32 1
		.amdhsa_uses_dynamic_stack 0
		.amdhsa_enable_private_segment 0
		.amdhsa_system_sgpr_workgroup_id_x 1
		.amdhsa_system_sgpr_workgroup_id_y 0
		.amdhsa_system_sgpr_workgroup_id_z 0
		.amdhsa_system_sgpr_workgroup_info 0
		.amdhsa_system_vgpr_workitem_id 0
		.amdhsa_next_free_vgpr 209
		.amdhsa_next_free_sgpr 20
		.amdhsa_reserve_vcc 1
		.amdhsa_float_round_mode_32 0
		.amdhsa_float_round_mode_16_64 0
		.amdhsa_float_denorm_mode_32 3
		.amdhsa_float_denorm_mode_16_64 3
		.amdhsa_fp16_overflow 0
		.amdhsa_workgroup_processor_mode 1
		.amdhsa_memory_ordered 1
		.amdhsa_forward_progress 0
		.amdhsa_round_robin_scheduling 0
		.amdhsa_exception_fp_ieee_invalid_op 0
		.amdhsa_exception_fp_denorm_src 0
		.amdhsa_exception_fp_ieee_div_zero 0
		.amdhsa_exception_fp_ieee_overflow 0
		.amdhsa_exception_fp_ieee_underflow 0
		.amdhsa_exception_fp_ieee_inexact 0
		.amdhsa_exception_int_div_zero 0
	.end_amdhsa_kernel
	.text
.Lfunc_end0:
	.size	fft_rtc_fwd_len160_factors_2_4_4_5_wgs_200_tpt_10_halfLds_dim2_sp_ip_CI_sbcc_twdbase8_3step_dirReg_intrinsicReadWrite, .Lfunc_end0-fft_rtc_fwd_len160_factors_2_4_4_5_wgs_200_tpt_10_halfLds_dim2_sp_ip_CI_sbcc_twdbase8_3step_dirReg_intrinsicReadWrite
                                        ; -- End function
	.section	.AMDGPU.csdata,"",@progbits
; Kernel info:
; codeLenInByte = 12240
; NumSgprs: 22
; NumVgprs: 209
; ScratchSize: 0
; MemoryBound: 0
; FloatMode: 240
; IeeeMode: 1
; LDSByteSize: 0 bytes/workgroup (compile time only)
; SGPRBlocks: 2
; VGPRBlocks: 26
; NumSGPRsForWavesPerEU: 22
; NumVGPRsForWavesPerEU: 209
; Occupancy: 7
; WaveLimiterHint : 1
; COMPUTE_PGM_RSRC2:SCRATCH_EN: 0
; COMPUTE_PGM_RSRC2:USER_SGPR: 2
; COMPUTE_PGM_RSRC2:TRAP_HANDLER: 0
; COMPUTE_PGM_RSRC2:TGID_X_EN: 1
; COMPUTE_PGM_RSRC2:TGID_Y_EN: 0
; COMPUTE_PGM_RSRC2:TGID_Z_EN: 0
; COMPUTE_PGM_RSRC2:TIDIG_COMP_CNT: 0
	.text
	.p2alignl 7, 3214868480
	.fill 96, 4, 3214868480
	.type	__hip_cuid_12d26abbda6736cd,@object ; @__hip_cuid_12d26abbda6736cd
	.section	.bss,"aw",@nobits
	.globl	__hip_cuid_12d26abbda6736cd
__hip_cuid_12d26abbda6736cd:
	.byte	0                               ; 0x0
	.size	__hip_cuid_12d26abbda6736cd, 1

	.ident	"AMD clang version 19.0.0git (https://github.com/RadeonOpenCompute/llvm-project roc-6.4.0 25133 c7fe45cf4b819c5991fe208aaa96edf142730f1d)"
	.section	".note.GNU-stack","",@progbits
	.addrsig
	.addrsig_sym __hip_cuid_12d26abbda6736cd
	.amdgpu_metadata
---
amdhsa.kernels:
  - .args:
      - .actual_access:  read_only
        .address_space:  global
        .offset:         0
        .size:           8
        .value_kind:     global_buffer
      - .address_space:  global
        .offset:         8
        .size:           8
        .value_kind:     global_buffer
      - .actual_access:  read_only
        .address_space:  global
        .offset:         16
        .size:           8
        .value_kind:     global_buffer
      - .actual_access:  read_only
        .address_space:  global
        .offset:         24
        .size:           8
        .value_kind:     global_buffer
      - .offset:         32
        .size:           8
        .value_kind:     by_value
      - .actual_access:  read_only
        .address_space:  global
        .offset:         40
        .size:           8
        .value_kind:     global_buffer
      - .actual_access:  read_only
        .address_space:  global
        .offset:         48
        .size:           8
        .value_kind:     global_buffer
      - .offset:         56
        .size:           4
        .value_kind:     by_value
      - .actual_access:  read_only
        .address_space:  global
        .offset:         64
        .size:           8
        .value_kind:     global_buffer
      - .actual_access:  read_only
        .address_space:  global
        .offset:         72
        .size:           8
        .value_kind:     global_buffer
      - .address_space:  global
        .offset:         80
        .size:           8
        .value_kind:     global_buffer
    .group_segment_fixed_size: 0
    .kernarg_segment_align: 8
    .kernarg_segment_size: 88
    .language:       OpenCL C
    .language_version:
      - 2
      - 0
    .max_flat_workgroup_size: 200
    .name:           fft_rtc_fwd_len160_factors_2_4_4_5_wgs_200_tpt_10_halfLds_dim2_sp_ip_CI_sbcc_twdbase8_3step_dirReg_intrinsicReadWrite
    .private_segment_fixed_size: 0
    .sgpr_count:     22
    .sgpr_spill_count: 0
    .symbol:         fft_rtc_fwd_len160_factors_2_4_4_5_wgs_200_tpt_10_halfLds_dim2_sp_ip_CI_sbcc_twdbase8_3step_dirReg_intrinsicReadWrite.kd
    .uniform_work_group_size: 1
    .uses_dynamic_stack: false
    .vgpr_count:     209
    .vgpr_spill_count: 0
    .wavefront_size: 32
    .workgroup_processor_mode: 1
amdhsa.target:   amdgcn-amd-amdhsa--gfx1201
amdhsa.version:
  - 1
  - 2
...

	.end_amdgpu_metadata
